;; amdgpu-corpus repo=ROCm/aiter kind=harvested arch=n/a opt=n/a

/root/src/amdgpu-assembly/repos/ROCm__aiter/hsa/gfx942/pa/pa_bf16_pertokenInt8_gqa16_1tg_4w_mtp_msk0.co:	file format elf64-amdgpu

Disassembly of section .text:

0000000000002200 <_ZN5aiter42pa_bf16_pertokenInt8_gqa16_1tg_4w_mtp_msk0E>:
	s_and_b32 s1, s1, 0xffff                                   // 000000002200: 8601FF01 0000FFFF
	s_load_dwordx2 s[8:9], s[0:1], 0x0                         // 000000002208: C0060200 00000000
	s_load_dwordx2 s[12:13], s[0:1], 0x10                      // 000000002210: C0060300 00000010
	s_load_dwordx2 s[16:17], s[0:1], 0x20                      // 000000002218: C0060400 00000020
	s_load_dwordx2 s[20:21], s[0:1], 0x30                      // 000000002220: C0060500 00000030
	s_load_dwordx2 s[24:25], s[0:1], 0x40                      // 000000002228: C0060600 00000040
	s_load_dwordx2 s[28:29], s[0:1], 0x50                      // 000000002230: C0060700 00000050
	s_load_dwordx2 s[32:33], s[0:1], 0x60                      // 000000002238: C0060800 00000060
	s_load_dwordx2 s[36:37], s[0:1], 0x70                      // 000000002240: C0060900 00000070
	s_load_dword s64, s[0:1], 0x80                             // 000000002248: C0021000 00000080
	s_load_dword s65, s[0:1], 0x90                             // 000000002250: C0021040 00000090
	s_load_dword s66, s[0:1], 0xa0                             // 000000002258: C0021080 000000A0
	s_load_dword s74, s[0:1], 0xb0                             // 000000002260: C0021280 000000B0
	s_load_dword s68, s[0:1], 0xc0                             // 000000002268: C0021100 000000C0
	s_load_dword s69, s[0:1], 0xd0                             // 000000002270: C0021140 000000D0
	s_load_dword s77, s[0:1], 0xe0                             // 000000002278: C0021340 000000E0
	s_load_dwordx2 s[80:81], s[0:1], 0xf0                      // 000000002280: C0061400 000000F0
	v_lshrrev_b32_e32 v1, 10, v0                               // 000000002288: 2002008A
	v_lshrrev_b32_e32 v2, 10, v1                               // 00000000228C: 2004028A
	v_and_b32_e32 v2, 0x3ff, v2                                // 000000002290: 260404FF 000003FF
	v_and_b32_e32 v1, 0x3ff, v1                                // 000000002298: 260202FF 000003FF
	v_and_b32_e32 v0, 0x3ff, v0                                // 0000000022A0: 260000FF 000003FF
	v_lshrrev_b32_e32 v3, 6, v0                                // 0000000022A8: 20060086
	v_and_b32_e32 v0, 63, v0                                   // 0000000022AC: 260000BF
	s_mov_b32 s2, s2                                           // 0000000022B0: BE820002
	s_mov_b32 s3, s3                                           // 0000000022B4: BE830003
	s_mov_b32 s4, s4                                           // 0000000022B8: BE840004
	v_readfirstlane_b32 s7, v3                                 // 0000000022BC: 7E0E0503
	s_waitcnt lgkmcnt(0)                                       // 0000000022C0: BF8CC07F
	s_mul_i32 s67, 0x100, s77                                  // 0000000022C4: 92434DFF 00000100
	s_mul_i32 s76, 0x100, s77                                  // 0000000022CC: 924C4DFF 00000100
	s_mul_i32 s75, s66, s76                                    // 0000000022D4: 924B4C42
	s_mul_i32 s60, s3, 4                                       // 0000000022D8: 923C8403
	s_and_b32 s29, s29, 0xffff                                 // 0000000022DC: 861DFF1D 0000FFFF
	s_add_u32 s28, s60, s28                                    // 0000000022E4: 801C1C3C
	s_addc_u32 s29, 0, s29                                     // 0000000022E8: 821D1D80
	s_load_dword s72, s[28:29], 0x0                            // 0000000022EC: C002120E 00000000
	s_mul_i32 s60, s3, 4                                       // 0000000022F4: 923C8403
	s_and_b32 s81, s81, 0xffff                                 // 0000000022F8: 8651FF51 0000FFFF
	s_add_u32 s80, s60, s80                                    // 000000002300: 8050503C
	s_addc_u32 s81, 0, s81                                     // 000000002304: 82515180
	s_load_dword s84, s[80:81], 0x0                            // 000000002308: C0021528 00000000
	s_load_dword s85, s[80:81], 0x4                            // 000000002310: C0021568 00000004
	s_mov_b32 s10, s76                                         // 000000002318: BE8A004C
	s_mov_b32 s14, s67                                         // 00000000231C: BE8E0043
	s_mul_i32 s60, 4, s65                                      // 000000002320: 923C4184
	s_mov_b32 s26, s60                                         // 000000002324: BE9A003C
	s_mov_b32 s34, 0x80000000                                  // 000000002328: BEA200FF 80000000
	s_mov_b32 s38, 0x80000000                                  // 000000002330: BEA600FF 80000000
	s_mov_b32 s18, 0x80000000                                  // 000000002338: BE9200FF 80000000
	s_mov_b32 s22, 0x80000000                                  // 000000002340: BE9600FF 80000000
	s_mov_b32 s11, 0x20000                                     // 000000002348: BE8B00FF 00020000
	s_mov_b32 s15, 0x20000                                     // 000000002350: BE8F00FF 00020000
	s_mov_b32 s19, 0x20000                                     // 000000002358: BE9300FF 00020000
	s_mov_b32 s23, 0x20000                                     // 000000002360: BE9700FF 00020000
	s_mov_b32 s27, 0x20000                                     // 000000002368: BE9B00FF 00020000
	s_mov_b32 s35, 0x20000                                     // 000000002370: BEA300FF 00020000
	s_mov_b32 s39, 0x20000                                     // 000000002378: BEA700FF 00020000
	s_and_b32 s9, s9, 0xffff                                   // 000000002380: 8609FF09 0000FFFF
	s_and_b32 s13, s13, 0xffff                                 // 000000002388: 860DFF0D 0000FFFF
	s_and_b32 s17, s17, 0xffff                                 // 000000002390: 8611FF11 0000FFFF
	s_and_b32 s21, s21, 0xffff                                 // 000000002398: 8615FF15 0000FFFF
	s_and_b32 s25, s25, 0xffff                                 // 0000000023A0: 8619FF19 0000FFFF
	s_and_b32 s33, s33, 0xffff                                 // 0000000023A8: 8621FF21 0000FFFF
	s_and_b32 s37, s37, 0xffff                                 // 0000000023B0: 8625FF25 0000FFFF
	s_or_b32 s9, s9, 0x40000                                   // 0000000023B8: 8709FF09 00040000
	s_or_b32 s13, s13, 0x40000                                 // 0000000023C0: 870DFF0D 00040000
	s_or_b32 s17, s17, 0x40000                                 // 0000000023C8: 8711FF11 00040000
	s_or_b32 s21, s21, 0x40000                                 // 0000000023D0: 8715FF15 00040000
	s_or_b32 s25, s25, 0x40000                                 // 0000000023D8: 8719FF19 00040000
	s_or_b32 s33, s33, 0x40000                                 // 0000000023E0: 8721FF21 00040000
	s_or_b32 s37, s37, 0x40000                                 // 0000000023E8: 8725FF25 00040000
	v_accvgpr_write_b32 a127, 0                                // 0000000023F0: D3D9407F 18000080
	v_mov_b32_e32 v255, 0                                      // 0000000023F8: 7FFE0280
	s_waitcnt lgkmcnt(0)                                       // 0000000023FC: BF8CC07F
	s_sub_u32 s86, s85, s84                                    // 000000002400: 80D65455
	s_mov_b32 s60, 2                                           // 000000002404: BEBC0082
	s_cmp_eq_i32 s60, s86                                      // 000000002408: BF00563C
	s_cbranch_scc1 label_123D                                  // 00000000240C: BF8511B9
	s_mov_b32 s60, 3                                           // 000000002410: BEBC0083
	s_cmp_eq_i32 s60, s86                                      // 000000002414: BF00563C
	s_cbranch_scc1 label_3300                                  // 000000002418: BF853279
	s_mov_b32 s60, 4                                           // 00000000241C: BEBC0084
	s_cmp_eq_i32 s60, s86                                      // 000000002420: BF00563C
	s_cbranch_scc1 label_6301                                  // 000000002424: BF856277
	s_mul_i32 s60, s3, s65                                     // 000000002428: 923C4103
	s_mul_i32 s60, s60, 4                                      // 00000000242C: 923C843C
	s_add_u32 s24, s60, s24                                    // 000000002430: 8018183C
	s_addc_u32 s25, 0, s25                                     // 000000002434: 82191980
	s_mov_b32 s56, 64                                          // 000000002438: BEB800C0
	s_add_u32 s73, s72, 15                                     // 00000000243C: 80498F48
	s_lshr_b32 s73, s73, 4                                     // 000000002440: 8F498449
	s_mul_i32 s60, s73, 4                                      // 000000002444: 923C8449
	s_mov_b32 s26, s60                                         // 000000002448: BE9A003C
	v_and_b32_e32 v65, 3, v0                                   // 00000000244C: 26820083
	v_cmp_eq_u32_e64 s[60:61], 0, v65                          // 000000002450: D0CA003C 00028280
	v_and_b32_e32 v64, 12, v0                                  // 000000002458: 2680008C
	v_add_u32_e32 v1, s7, v64                                  // 00000000245C: 68028007
	v_cndmask_b32_e64 v1, 0, v1, s[60:61]                      // 000000002460: D1000001 00F20280
	v_and_b32_e32 v65, 3, v0                                   // 000000002468: 26820083
	v_cmp_eq_u32_e64 s[60:61], 1, v65                          // 00000000246C: D0CA003C 00028281
	v_lshrrev_b32_e32 v64, 4, v0                               // 000000002474: 20800084
	v_and_b32_e32 v65, 12, v0                                  // 000000002478: 2682008C
	v_add_u32_e32 v64, v65, v64                                // 00000000247C: 68808141
	v_cndmask_b32_e64 v64, 0, v64, s[60:61]                    // 000000002480: D1000040 00F28080
	v_add_u32_e32 v1, v1, v64                                  // 000000002488: 68028101
	v_lshlrev_b32_e32 v1, 2, v1                                // 00000000248C: 24020282
	buffer_load_dword v16, v1, s[24:27], 0 offen               // 000000002490: E0501000 80061001
	v_add_u32_e32 v1, s56, v1                                  // 000000002498: 68020238
	buffer_load_dword v17, v1, s[24:27], 0 offen               // 00000000249C: E0501000 80061101
	s_cmp_le_u32 s73, 32                                       // 0000000024A4: BF0BA049
	s_cselect_b32 s56, 0, s56                                  // 0000000024A8: 85383880
	s_mul_i32 s60, s2, s67                                     // 0000000024AC: 923C4302
	s_mul_i32 s61, s84, s74                                    // 0000000024B0: 923D4A54
	s_add_u32 s60, s60, s61                                    // 0000000024B4: 803C3D3C
	s_add_u32 s12, s60, s12                                    // 0000000024B8: 800C0C3C
	s_addc_u32 s13, 0, s13                                     // 0000000024BC: 820D0D80
	s_mul_i32 s60, s7, 0x108                                   // 0000000024C0: 923CFF07 00000108
	s_add_u32 m0, 0, s60                                       // 0000000024C8: 807C3C80
	s_mul_i32 s60, s7, 0x100                                   // 0000000024CC: 923CFF07 00000100
	v_lshlrev_b32_e32 v64, 2, v0                               // 0000000024D4: 24800082
	v_add_u32_e64 v64, v64, s60                                // 0000000024D8: D1340040 00007940
	buffer_load_dword v64, s[12:15], 0 offen lds               // 0000000024E0: E0511000 80030040
	s_mul_i32 s60, 4, 0x108                                    // 0000000024E8: 923CFF84 00000108
	s_add_u32 m0, m0, s60                                      // 0000000024F0: 807C3C7C
	v_add_u32_e32 v64, 0x400, v64                              // 0000000024F4: 688080FF 00000400
	buffer_load_dword v64, s[12:15], 0 offen lds               // 0000000024FC: E0511000 80030040
	s_mul_i32 s60, 4, 0x108                                    // 000000002504: 923CFF84 00000108
	s_add_u32 m0, m0, s60                                      // 00000000250C: 807C3C7C
	v_add_u32_e32 v64, 0x400, v64                              // 000000002510: 688080FF 00000400
	buffer_load_dword v64, s[12:15], 0 offen lds               // 000000002518: E0511000 80030040
	s_mul_i32 s60, 4, 0x108                                    // 000000002520: 923CFF84 00000108
	s_add_u32 m0, m0, s60                                      // 000000002528: 807C3C7C
	v_add_u32_e32 v64, 0x400, v64                              // 00000000252C: 688080FF 00000400
	buffer_load_dword v64, s[12:15], 0 offen lds               // 000000002534: E0511000 80030040
	s_mul_i32 s60, 4, 0x108                                    // 00000000253C: 923CFF84 00000108
	s_add_u32 m0, m0, s60                                      // 000000002544: 807C3C7C
	v_add_u32_e32 v64, 0x400, v64                              // 000000002548: 688080FF 00000400
	v_lshrrev_b32_e32 v64, 4, v0                               // 000000002550: 20800084
	v_lshlrev_b32_e32 v64, 2, v64                              // 000000002554: 24808082
	v_and_b32_e32 v65, 3, v0                                   // 000000002558: 26820083
	v_add_u32_e32 v64, v65, v64                                // 00000000255C: 68808141
	v_lshlrev_b32_e32 v59, 2, v64                              // 000000002560: 24768082
	v_mov_b32_e32 v60, v59                                     // 000000002564: 7E78033B
	s_mul_i32 s60, s2, 64                                      // 000000002568: 923CC002
	s_add_u32 s32, s60, s32                                    // 00000000256C: 8020203C
	s_addc_u32 s33, 0, s33                                     // 000000002570: 82212180
	s_add_u32 s36, s60, s36                                    // 000000002574: 8024243C
	s_addc_u32 s37, 0, s37                                     // 000000002578: 82252580
	s_mul_i32 s60, s2, s76                                     // 00000000257C: 923C4C02
	s_mul_i32 s61, s84, s75                                    // 000000002580: 923D4B54
	s_add_u32 s60, s60, s61                                    // 000000002584: 803C3D3C
	s_add_u32 s8, s60, s8                                      // 000000002588: 8008083C
	s_addc_u32 s9, 0, s9                                       // 00000000258C: 82090980
	s_mov_b32 s70, 0                                           // 000000002590: BEC60080
	s_and_b32 s71, s72, 0xffffff00                             // 000000002594: 8647FF48 FFFFFF00
	s_mov_b32 s42, 0xff00ff00                                  // 00000000259C: BEAA00FF FF00FF00
	s_mov_b32 s43, 0xff00ff00                                  // 0000000025A4: BEAB00FF FF00FF00
	s_mov_b32 s44, 0xf0f0f0f0                                  // 0000000025AC: BEAC00FF F0F0F0F0
	s_mov_b32 s45, 0xf0f0f0f0                                  // 0000000025B4: BEAD00FF F0F0F0F0
	s_mov_b32 s78, 0xff00ff                                    // 0000000025BC: BECE00FF 00FF00FF
	s_mov_b32 s79, 0xff00ff                                    // 0000000025C4: BECF00FF 00FF00FF
	v_mul_i32_i24_e64 v63, 64, s66                             // 0000000025CC: D106003F 000084C0
	v_mov_b32_e32 v54, s68                                     // 0000000025D4: 7E6C0244
	s_mov_b32 s52, 0x7060302                                   // 0000000025D8: BEB400FF 07060302
	s_mov_b32 s53, 0x400                                       // 0000000025E0: BEB500FF 00000400
	s_mov_b32 s54, 0x40100                                     // 0000000025E8: BEB600FF 00040100
	s_mov_b32 s55, 0x4020100                                   // 0000000025F0: BEB700FF 04020100
	s_mov_b32 s6, 0x3fb8aa3b                                   // 0000000025F8: BE8600FF 3FB8AA3B
	v_mov_b32_e32 v11, 0xff800000                              // 000000002600: 7E1602FF FF800000
	v_mov_b32_e32 v49, 0                                       // 000000002608: 7E620280
	v_mov_b32_e32 v38, 0                                       // 00000000260C: 7E4C0280
	v_mov_b32_e32 v44, 0                                       // 000000002610: 7E580280
	v_add_u32_e32 v1, s56, v1                                  // 000000002614: 68020238
	v_and_b32_e32 v7, 15, v0                                   // 000000002618: 260E008F
	v_lshlrev_b32_e32 v7, 2, v7                                // 00000000261C: 240E0E82
	v_lshlrev_b32_e32 v8, 2, v0                                // 000000002620: 24100082
	s_mul_i32 s60, 0x100, s7                                   // 000000002624: 923C07FF 00000100
	v_add_u32_e32 v8, s60, v8                                  // 00000000262C: 6810103C
	v_lshrrev_b32_e32 v64, 4, v0                               // 000000002630: 20800084
	v_lshlrev_b32_e32 v65, 6, v64                              // 000000002634: 24828086
	v_and_b32_e32 v64, 15, v0                                  // 000000002638: 2680008F
	v_lshlrev_b32_e32 v64, 1, v64                              // 00000000263C: 24808081
	v_add_u32_e32 v65, v64, v65                                // 000000002640: 68828340
	v_lshlrev_b32_e32 v9, 2, v65                               // 000000002644: 24128282
	v_lshrrev_b32_e32 v64, 5, v0                               // 000000002648: 20800085
	v_lshlrev_b32_e32 v65, 5, v64                              // 00000000264C: 24828085
	v_and_b32_e32 v64, 31, v0                                  // 000000002650: 2680009F
	v_lshrrev_b32_e32 v66, 4, v64                              // 000000002654: 20848084
	v_add_u32_e32 v65, v66, v65                                // 000000002658: 68828342
	v_and_b32_e32 v64, 15, v0                                  // 00000000265C: 2680008F
	v_lshlrev_b32_e32 v64, 1, v64                              // 000000002660: 24808081
	v_add_u32_e32 v65, v64, v65                                // 000000002664: 68828340
	v_lshlrev_b32_e32 v64, 2, v65                              // 000000002668: 24808282
	s_mul_i32 s60, 0x100, s7                                   // 00000000266C: 923C07FF 00000100
	v_add_u32_e64 v10, v64, s60                                // 000000002674: D134000A 00007940
	v_lshlrev_b32_e32 v5, 4, v0                                // 00000000267C: 240A0084
	s_mul_i32 s60, s2, s69                                     // 000000002680: 923C4502
	s_add_u32 s16, s60, s16                                    // 000000002684: 8010103C
	s_addc_u32 s17, 0, s17                                     // 000000002688: 82111180
	v_and_b32_e32 v64, 15, v0                                  // 00000000268C: 2680008F
	v_lshlrev_b32_e32 v6, 4, v64                               // 000000002690: 240C8084
	s_mul_i32 s61, s2, s69                                     // 000000002694: 923D4502
	s_mul_i32 s60, s7, 0x100                                   // 000000002698: 923CFF07 00000100
	s_add_u32 s60, s60, s61                                    // 0000000026A0: 803C3D3C
	s_add_u32 s20, s60, s20                                    // 0000000026A4: 8014143C
	s_addc_u32 s21, 0, s21                                     // 0000000026A8: 82151580
	s_waitcnt vmcnt(4)                                         // 0000000026AC: BF8C0F74
	v_mul_u32_u24_dpp v64, v16, v54 row_newbcast:0 row_mask:0xf bank_mask:0xf// 0000000026B0: 10806CFA FF015010
	v_mul_u32_u24_dpp v65, v16, v54 row_newbcast:4 row_mask:0xf bank_mask:0xf// 0000000026B8: 10826CFA FF015410
	v_mul_u32_u24_dpp v66, v16, v54 row_newbcast:8 row_mask:0xf bank_mask:0xf// 0000000026C0: 10846CFA FF015810
	v_mul_u32_u24_dpp v67, v16, v54 row_newbcast:12 row_mask:0xf bank_mask:0xf// 0000000026C8: 10866CFA FF015C10
	v_add_u32_e32 v22, v64, v5                                 // 0000000026D0: 682C0B40
	v_add_u32_e32 v23, v65, v5                                 // 0000000026D4: 682E0B41
	v_add_u32_e32 v24, v66, v5                                 // 0000000026D8: 68300B42
	v_add_u32_e32 v25, v67, v5                                 // 0000000026DC: 68320B43
	v_mul_u32_u24_dpp v64, v16, v54 row_newbcast:1 row_mask:0xf bank_mask:0xf// 0000000026E0: 10806CFA FF015110
	v_mul_u32_u24_dpp v65, v16, v54 row_newbcast:5 row_mask:0xf bank_mask:0xf// 0000000026E8: 10826CFA FF015510
	v_mul_u32_u24_dpp v66, v16, v54 row_newbcast:9 row_mask:0xf bank_mask:0xf// 0000000026F0: 10846CFA FF015910
	v_mul_u32_u24_dpp v67, v16, v54 row_newbcast:13 row_mask:0xf bank_mask:0xf// 0000000026F8: 10866CFA FF015D10
	v_add_u32_e32 v30, v64, v6                                 // 000000002700: 683C0D40
	v_add_u32_e32 v31, v65, v6                                 // 000000002704: 683E0D41
	v_add_u32_e32 v32, v66, v6                                 // 000000002708: 68400D42
	v_add_u32_e32 v33, v67, v6                                 // 00000000270C: 68420D43
	v_mul_u32_u24_dpp v64, v16, v63 quad_perm:[0,0,0,0] row_mask:0xf bank_mask:0xf// 000000002710: 10807EFA FF000010
	v_add_u32_e32 v2, v64, v59                                 // 000000002718: 68047740
	v_mul_u32_u24_dpp v64, v16, v63 quad_perm:[0,0,0,0] row_mask:0xf bank_mask:0xf// 00000000271C: 10807EFA FF000010
	v_add_u32_e32 v55, v64, v60                                // 000000002724: 686E7940
	buffer_load_dword v42, v2, s[32:35], 0 offen               // 000000002728: E0501000 80082A02
	buffer_load_dwordx4 a[0:3], v22, s[16:19], 0 offen         // 000000002730: E05C1000 80840016
	buffer_load_dwordx4 a[4:7], v22, s[16:19], 0 offen offset:1024// 000000002738: E05C1400 80840416
	buffer_load_dwordx4 a[8:11], v23, s[16:19], 0 offen        // 000000002740: E05C1000 80840817
	buffer_load_dwordx4 a[12:15], v23, s[16:19], 0 offen offset:1024// 000000002748: E05C1400 80840C17
	buffer_load_dwordx4 a[16:19], v24, s[16:19], 0 offen       // 000000002750: E05C1000 80841018
	buffer_load_dwordx4 a[20:23], v24, s[16:19], 0 offen offset:1024// 000000002758: E05C1400 80841418
	buffer_load_dwordx4 a[24:27], v25, s[16:19], 0 offen       // 000000002760: E05C1000 80841819
	buffer_load_dwordx4 a[28:31], v25, s[16:19], 0 offen offset:1024// 000000002768: E05C1400 80841C19
	buffer_load_dword v57, v55, s[36:39], 0 offen              // 000000002770: E0501000 80093937
	buffer_load_dwordx4 a[64:67], v30, s[20:23], 0 offen       // 000000002778: E05C1000 8085401E
	buffer_load_dwordx4 a[68:71], v31, s[20:23], 0 offen       // 000000002780: E05C1000 8085441F
	buffer_load_dwordx4 a[72:75], v32, s[20:23], 0 offen       // 000000002788: E05C1000 80854820
	buffer_load_dwordx4 a[76:79], v33, s[20:23], 0 offen       // 000000002790: E05C1000 80854C21
	buffer_load_dwordx4 a[80:83], v30, s[20:23], 0 offen offset:1024// 000000002798: E05C1400 8085501E
	buffer_load_dwordx4 a[84:87], v31, s[20:23], 0 offen offset:1024// 0000000027A0: E05C1400 8085541F
	buffer_load_dwordx4 a[88:91], v32, s[20:23], 0 offen offset:1024// 0000000027A8: E05C1400 80855820
	buffer_load_dwordx4 a[92:95], v33, s[20:23], 0 offen offset:1024// 0000000027B0: E05C1400 80855C21
	v_lshrrev_b32_e32 v64, 4, v0                               // 0000000027B8: 20800084
	v_lshlrev_b32_e32 v65, 1, v64                              // 0000000027BC: 24828081
	v_and_b32_e32 v64, 15, v0                                  // 0000000027C0: 2680008F
	v_mul_i32_i24_e32 v64, 0x42, v64                           // 0000000027C4: 0C8080FF 00000042
	v_add_u32_e32 v65, v64, v65                                // 0000000027CC: 68828340
	v_lshlrev_b32_e32 v4, 2, v65                               // 0000000027D0: 24088282
	s_mul_i32 s60, s7, 32                                      // 0000000027D4: 923CA007
	v_add_u32_e32 v4, s60, v4                                  // 0000000027D8: 6808083C
	s_waitcnt vmcnt(16) lgkmcnt(0)                             // 0000000027DC: BF8C4070
	s_barrier                                                  // 0000000027E0: BF8A0000
	ds_read_b64 v[80:81], v4                                   // 0000000027E4: D8EC0000 50000004
	ds_read_b64 v[84:85], v4 offset:128                        // 0000000027EC: D8EC0080 54000004
	s_waitcnt lgkmcnt(0)                                       // 0000000027F4: BF8CC07F
	v_and_b32_e32 v83, 0xffff0000, v81                         // 0000000027F8: 26A6A2FF FFFF0000
	v_lshlrev_b32_e32 v82, 16, v81                             // 000000002800: 24A4A290
	v_and_b32_e32 v81, 0xffff0000, v80                         // 000000002804: 26A2A0FF FFFF0000
	v_lshlrev_b32_e32 v80, 16, v80                             // 00000000280C: 24A0A090
	v_and_b32_e32 v87, 0xffff0000, v85                         // 000000002810: 26AEAAFF FFFF0000
	v_lshlrev_b32_e32 v86, 16, v85                             // 000000002818: 24ACAA90
	v_and_b32_e32 v85, 0xffff0000, v84                         // 00000000281C: 26AAA8FF FFFF0000
	v_lshlrev_b32_e32 v84, 16, v84                             // 000000002824: 24A8A890
	v_mov_b32_e32 v48, 0x358637bd                              // 000000002828: 7E6002FF 358637BD
	v_max3_f32 v48, |v80|, |v81|, v48                          // 000000002830: D1D30330 04C2A350
	v_max3_f32 v48, |v82|, |v83|, v48                          // 000000002838: D1D30330 04C2A752
	v_max3_f32 v48, |v84|, |v85|, v48                          // 000000002840: D1D30330 04C2AB54
	v_max3_f32 v48, |v86|, |v87|, v48                          // 000000002848: D1D30330 04C2AF56
	ds_write_b32 v8, v48 offset:16896                          // 000000002850: D81A4200 00003008
	s_waitcnt lgkmcnt(0)                                       // 000000002858: BF8CC07F
	s_barrier                                                  // 00000000285C: BF8A0000
	ds_read_b32 v64, v7 offset:16896                           // 000000002860: D86C4200 40000007
	ds_read_b32 v65, v7 offset:16960                           // 000000002868: D86C4240 41000007
	ds_read_b32 v66, v7 offset:17024                           // 000000002870: D86C4280 42000007
	ds_read_b32 v67, v7 offset:17088                           // 000000002878: D86C42C0 43000007
	ds_read_b32 v68, v7 offset:17152                           // 000000002880: D86C4300 44000007
	ds_read_b32 v69, v7 offset:17216                           // 000000002888: D86C4340 45000007
	ds_read_b32 v70, v7 offset:17280                           // 000000002890: D86C4380 46000007
	ds_read_b32 v71, v7 offset:17344                           // 000000002898: D86C43C0 47000007
	ds_read_b32 v72, v7 offset:17408                           // 0000000028A0: D86C4400 48000007
	ds_read_b32 v73, v7 offset:17472                           // 0000000028A8: D86C4440 49000007
	ds_read_b32 v74, v7 offset:17536                           // 0000000028B0: D86C4480 4A000007
	ds_read_b32 v75, v7 offset:17600                           // 0000000028B8: D86C44C0 4B000007
	ds_read_b32 v76, v7 offset:17664                           // 0000000028C0: D86C4500 4C000007
	ds_read_b32 v77, v7 offset:17728                           // 0000000028C8: D86C4540 4D000007
	ds_read_b32 v78, v7 offset:17792                           // 0000000028D0: D86C4580 4E000007
	ds_read_b32 v79, v7 offset:17856                           // 0000000028D8: D86C45C0 4F000007
	s_waitcnt lgkmcnt(0)                                       // 0000000028E0: BF8CC07F
	v_max3_f32 v48, |v64|, |v65|, v48                          // 0000000028E4: D1D30330 04C28340
	v_max3_f32 v48, |v66|, |v67|, v48                          // 0000000028EC: D1D30330 04C28742
	v_max3_f32 v48, |v68|, |v69|, v48                          // 0000000028F4: D1D30330 04C28B44
	v_max3_f32 v48, |v70|, |v71|, v48                          // 0000000028FC: D1D30330 04C28F46
	v_max3_f32 v48, |v72|, |v73|, v48                          // 000000002904: D1D30330 04C29348
	v_max3_f32 v48, |v74|, |v75|, v48                          // 00000000290C: D1D30330 04C2974A
	v_max3_f32 v48, |v76|, |v77|, v48                          // 000000002914: D1D30330 04C29B4C
	v_max3_f32 v48, |v78|, |v79|, v48                          // 00000000291C: D1D30330 04C29F4E
	v_rcp_f32_e32 v48, v48                                     // 000000002924: 7E604530
	s_nop 1                                                    // 000000002928: BF800001
	v_mul_f32_e32 v48, 0x42fe0000, v48                         // 00000000292C: 0A6060FF 42FE0000
	v_mul_f32_e32 v80, v48, v80                                // 000000002934: 0AA0A130
	v_mul_f32_e32 v81, v48, v81                                // 000000002938: 0AA2A330
	v_mul_f32_e32 v82, v48, v82                                // 00000000293C: 0AA4A530
	v_mul_f32_e32 v83, v48, v83                                // 000000002940: 0AA6A730
	v_mul_f32_e32 v84, v48, v84                                // 000000002944: 0AA8A930
	v_mul_f32_e32 v85, v48, v85                                // 000000002948: 0AAAAB30
	v_mul_f32_e32 v86, v48, v86                                // 00000000294C: 0AACAD30
	v_mul_f32_e32 v87, v48, v87                                // 000000002950: 0AAEAF30
	v_cvt_i32_f32_e32 v80, v80                                 // 000000002954: 7EA01150
	v_cvt_i32_f32_e32 v81, v81                                 // 000000002958: 7EA21151
	v_cvt_i32_f32_e32 v82, v82                                 // 00000000295C: 7EA41152
	v_cvt_i32_f32_e32 v83, v83                                 // 000000002960: 7EA61153
	v_cvt_i32_f32_e32 v84, v84                                 // 000000002964: 7EA81154
	v_cvt_i32_f32_e32 v85, v85                                 // 000000002968: 7EAA1155
	v_cvt_i32_f32_e32 v86, v86                                 // 00000000296C: 7EAC1156
	v_cvt_i32_f32_e32 v87, v87                                 // 000000002970: 7EAE1157
	v_rcp_f32_e32 v18, v48                                     // 000000002974: 7E244530
	v_perm_b32 v80, v81, v80, s53                              // 000000002978: D1ED0050 00D6A151
	v_perm_b32 v80, v82, v80, s54                              // 000000002980: D1ED0050 00DAA152
	v_perm_b32 v80, v83, v80, s55                              // 000000002988: D1ED0050 00DEA153
	v_perm_b32 v81, v85, v84, s53                              // 000000002990: D1ED0051 00D6A955
	v_perm_b32 v81, v86, v81, s54                              // 000000002998: D1ED0051 00DAA356
	v_perm_b32 v81, v87, v81, s55                              // 0000000029A0: D1ED0051 00DEA357
	ds_write_b32 v10, v80 offset:25088                         // 0000000029A8: D81A6200 0000500A
	ds_write_b32 v10, v81 offset:26112                         // 0000000029B0: D81A6600 0000510A
	s_waitcnt lgkmcnt(0)                                       // 0000000029B8: BF8CC07F
	s_barrier                                                  // 0000000029BC: BF8A0000
	ds_read_b64 v[80:81], v9 offset:25088                      // 0000000029C0: D8EC6200 50000009
	ds_read_b64 v[82:83], v9 offset:25216                      // 0000000029C8: D8EC6280 52000009
	ds_read_b64 v[84:85], v9 offset:26112                      // 0000000029D0: D8EC6600 54000009
	ds_read_b64 v[86:87], v9 offset:26240                      // 0000000029D8: D8EC6680 56000009
	v_mov_b32_e32 v208, 0                                      // 0000000029E0: 7FA00280
	v_mov_b32_e32 v209, 0                                      // 0000000029E4: 7FA20280
	v_mov_b32_e32 v210, 0                                      // 0000000029E8: 7FA40280
	v_mov_b32_e32 v211, 0                                      // 0000000029EC: 7FA60280
	v_mov_b32_e32 v212, 0                                      // 0000000029F0: 7FA80280
	v_mov_b32_e32 v213, 0                                      // 0000000029F4: 7FAA0280
	v_mov_b32_e32 v214, 0                                      // 0000000029F8: 7FAC0280
	v_mov_b32_e32 v215, 0                                      // 0000000029FC: 7FAE0280
	v_mov_b32_e32 v176, 0                                      // 000000002A00: 7F600280
	v_mov_b32_e32 v177, 0                                      // 000000002A04: 7F620280
	v_mov_b32_e32 v178, 0                                      // 000000002A08: 7F640280
	v_mov_b32_e32 v179, 0                                      // 000000002A0C: 7F660280
	v_mov_b32_e32 v180, 0                                      // 000000002A10: 7F680280
	v_mov_b32_e32 v181, 0                                      // 000000002A14: 7F6A0280
	v_mov_b32_e32 v182, 0                                      // 000000002A18: 7F6C0280
	v_mov_b32_e32 v183, 0                                      // 000000002A1C: 7F6E0280
	s_waitcnt vmcnt(8) lgkmcnt(0)                              // 000000002A20: BF8C0078
	s_barrier                                                  // 000000002A24: BF8A0000
	s_cmp_lt_u32 s73, 16                                       // 000000002A28: BF0A9049
	s_cbranch_scc1 label_0C0B                                  // 000000002A2C: BF8509FF
	s_cmp_lt_i32 s7, 2                                         // 000000002A30: BF048207
	s_cbranch_scc0 label_070E                                  // 000000002A34: BF840500

0000000000002a38 <label_020E>:
	s_waitcnt vmcnt(8) lgkmcnt(0)                              // 000000002A38: BF8C0078
	v_mul_u32_u24_dpp v64, v17, v54 row_newbcast:0 row_mask:0xf bank_mask:0xf// 000000002A3C: 10806CFA FF015011
	v_mul_u32_u24_dpp v65, v17, v54 row_newbcast:4 row_mask:0xf bank_mask:0xf// 000000002A44: 10826CFA FF015411
	v_mul_u32_u24_dpp v66, v17, v54 row_newbcast:8 row_mask:0xf bank_mask:0xf// 000000002A4C: 10846CFA FF015811
	v_mul_u32_u24_dpp v67, v17, v54 row_newbcast:12 row_mask:0xf bank_mask:0xf// 000000002A54: 10866CFA FF015C11
	v_add_u32_e32 v26, v64, v5                                 // 000000002A5C: 68340B40
	v_add_u32_e32 v27, v65, v5                                 // 000000002A60: 68360B41
	v_add_u32_e32 v28, v66, v5                                 // 000000002A64: 68380B42
	v_add_u32_e32 v29, v67, v5                                 // 000000002A68: 683A0B43
	v_mul_u32_u24_dpp v64, v17, v63 quad_perm:[0,0,0,0] row_mask:0xf bank_mask:0xf// 000000002A6C: 10807EFA FF000011
	v_add_u32_e32 v3, v64, v59                                 // 000000002A74: 68067740
	v_mul_u32_u24_dpp v64, v17, v63 quad_perm:[0,0,0,0] row_mask:0xf bank_mask:0xf// 000000002A78: 10807EFA FF000011
	v_add_u32_e32 v56, v64, v60                                // 000000002A80: 68707940
	v_mfma_i32_16x16x32_i8 v[112:115], a[0:1], v[80:81], 0     // 000000002A84: D3D70070 0A02A100
	v_mfma_i32_16x16x32_i8 v[112:115], a[2:3], v[82:83], v[112:115]// 000000002A8C: D3D70070 0DC2A502
	buffer_load_dwordx4 a[32:35], v26, s[16:19], 0 offen       // 000000002A94: E05C1000 8084201A
	v_mfma_i32_16x16x32_i8 v[112:115], a[4:5], v[84:85], v[112:115]// 000000002A9C: D3D70070 0DC2A904
	v_mfma_i32_16x16x32_i8 v[112:115], a[6:7], v[86:87], v[112:115]// 000000002AA4: D3D70070 0DC2AD06
	buffer_load_dword v16, v1, s[24:27], 0 offen               // 000000002AAC: E0501000 80061001
	v_mfma_i32_16x16x32_i8 v[116:119], a[8:9], v[80:81], 0     // 000000002AB4: D3D70074 0A02A108
	v_mfma_i32_16x16x32_i8 v[116:119], a[10:11], v[82:83], v[116:119]// 000000002ABC: D3D70074 0DD2A50A
	buffer_load_dwordx4 a[36:39], v26, s[16:19], 0 offen offset:1024// 000000002AC4: E05C1400 8084241A
	v_mfma_i32_16x16x32_i8 v[116:119], a[12:13], v[84:85], v[116:119]// 000000002ACC: D3D70074 0DD2A90C
	v_mfma_i32_16x16x32_i8 v[116:119], a[14:15], v[86:87], v[116:119]// 000000002AD4: D3D70074 0DD2AD0E
	v_mfma_i32_16x16x32_i8 v[120:123], a[16:17], v[80:81], 0   // 000000002ADC: D3D70078 0A02A110
	v_mfma_i32_16x16x32_i8 v[120:123], a[18:19], v[82:83], v[120:123]// 000000002AE4: D3D70078 0DE2A512
	buffer_load_dwordx4 a[40:43], v27, s[16:19], 0 offen       // 000000002AEC: E05C1000 8084281B
	v_mfma_i32_16x16x32_i8 v[120:123], a[20:21], v[84:85], v[120:123]// 000000002AF4: D3D70078 0DE2A914
	v_mfma_i32_16x16x32_i8 v[120:123], a[22:23], v[86:87], v[120:123]// 000000002AFC: D3D70078 0DE2AD16
	v_mfma_i32_16x16x32_i8 v[124:127], a[24:25], v[80:81], 0   // 000000002B04: D3D7007C 0A02A118
	v_mfma_i32_16x16x32_i8 v[124:127], a[26:27], v[82:83], v[124:127]// 000000002B0C: D3D7007C 0DF2A51A
	buffer_load_dwordx4 a[44:47], v27, s[16:19], 0 offen offset:1024// 000000002B14: E05C1400 80842C1B
	v_mfma_i32_16x16x32_i8 v[124:127], a[28:29], v[84:85], v[124:127]// 000000002B1C: D3D7007C 0DF2A91C
	v_mfma_i32_16x16x32_i8 v[124:127], a[30:31], v[86:87], v[124:127]// 000000002B24: D3D7007C 0DF2AD1E
	buffer_load_dword v43, v3, s[32:35], 0 offen               // 000000002B2C: E0501000 80082B03
	v_mov_b32_dpp v64, v42 row_shr:4 row_mask:0xf bank_mask:0xf// 000000002B34: 7E8002FA FF01142A
	v_mov_b32_dpp v65, v42 row_shl:4 row_mask:0xf bank_mask:0xf// 000000002B3C: 7E8202FA FF01042A
	v_cndmask_b32_e64 v248, v42, v64, s[44:45]                 // 000000002B44: D10000F8 00B2812A
	v_cndmask_b32_e64 v249, v65, v42, s[44:45]                 // 000000002B4C: D10000F9 00B25541
	v_mov_b32_dpp v64, v248 row_shr:8 row_mask:0xf bank_mask:0xf// 000000002B54: 7E8002FA FF0118F8
	v_mov_b32_dpp v65, v248 row_shl:8 row_mask:0xf bank_mask:0xf// 000000002B5C: 7E8202FA FF0108F8
	v_mov_b32_dpp v66, v249 row_shr:8 row_mask:0xf bank_mask:0xf// 000000002B64: 7E8402FA FF0118F9
	v_mov_b32_dpp v67, v249 row_shl:8 row_mask:0xf bank_mask:0xf// 000000002B6C: 7E8602FA FF0108F9
	v_mov_b32_e32 v68, v248                                    // 000000002B74: 7E8803F8
	v_mov_b32_e32 v69, v249                                    // 000000002B78: 7E8A03F9
	v_cndmask_b32_e64 v248, v68, v64, s[42:43]                 // 000000002B7C: D10000F8 00AA8144
	v_cndmask_b32_e64 v250, v68, v65, s[78:79]                 // 000000002B84: D10000FA 013A8344
	v_cndmask_b32_e64 v249, v69, v66, s[42:43]                 // 000000002B8C: D10000F9 00AA8545
	v_cndmask_b32_e64 v251, v69, v67, s[78:79]                 // 000000002B94: D10000FB 013A8745
	v_mov_b32_dpp v64, v57 row_shr:4 row_mask:0xf bank_mask:0xf// 000000002B9C: 7E8002FA FF011439
	v_mov_b32_dpp v65, v57 row_shl:4 row_mask:0xf bank_mask:0xf// 000000002BA4: 7E8202FA FF010439
	v_cndmask_b32_e64 v252, v57, v64, s[44:45]                 // 000000002BAC: D10000FC 00B28139
	v_cndmask_b32_e64 v253, v65, v57, s[44:45]                 // 000000002BB4: D10000FD 00B27341
	v_mov_b32_dpp v64, v252 row_shr:8 row_mask:0xf bank_mask:0xf// 000000002BBC: 7E8002FA FF0118FC
	v_mov_b32_dpp v65, v252 row_shl:8 row_mask:0xf bank_mask:0xf// 000000002BC4: 7E8202FA FF0108FC
	v_mov_b32_dpp v66, v253 row_shr:8 row_mask:0xf bank_mask:0xf// 000000002BCC: 7E8402FA FF0118FD
	v_mov_b32_dpp v67, v253 row_shl:8 row_mask:0xf bank_mask:0xf// 000000002BD4: 7E8602FA FF0108FD
	v_mov_b32_e32 v68, v252                                    // 000000002BDC: 7E8803FC
	v_mov_b32_e32 v69, v253                                    // 000000002BE0: 7E8A03FD
	v_cndmask_b32_e64 v252, v68, v64, s[42:43]                 // 000000002BE4: D10000FC 00AA8144
	v_cndmask_b32_e64 v254, v68, v65, s[78:79]                 // 000000002BEC: D10000FE 013A8344
	v_cndmask_b32_e64 v253, v69, v66, s[42:43]                 // 000000002BF4: D10000FD 00AA8545
	v_cndmask_b32_e64 v255, v69, v67, s[78:79]                 // 000000002BFC: D10000FF 013A8745
	buffer_load_dword v58, v56, s[36:39], 0 offen              // 000000002C04: E0501000 80093A38
	v_cvt_f32_i32_e32 v112, v112                               // 000000002C0C: 7EE00B70
	v_cvt_f32_i32_e32 v113, v113                               // 000000002C10: 7EE20B71
	v_cvt_f32_i32_e32 v114, v114                               // 000000002C14: 7EE40B72
	v_cvt_f32_i32_e32 v115, v115                               // 000000002C18: 7EE60B73
	v_cvt_f32_i32_e32 v116, v116                               // 000000002C1C: 7EE80B74
	v_cvt_f32_i32_e32 v117, v117                               // 000000002C20: 7EEA0B75
	v_cvt_f32_i32_e32 v118, v118                               // 000000002C24: 7EEC0B76
	v_cvt_f32_i32_e32 v119, v119                               // 000000002C28: 7EEE0B77
	v_cvt_f32_i32_e32 v120, v120                               // 000000002C2C: 7EF00B78
	v_cvt_f32_i32_e32 v121, v121                               // 000000002C30: 7EF20B79
	v_cvt_f32_i32_e32 v122, v122                               // 000000002C34: 7EF40B7A
	v_cvt_f32_i32_e32 v123, v123                               // 000000002C38: 7EF60B7B
	v_cvt_f32_i32_e32 v124, v124                               // 000000002C3C: 7EF80B7C
	v_cvt_f32_i32_e32 v125, v125                               // 000000002C40: 7EFA0B7D
	v_cvt_f32_i32_e32 v126, v126                               // 000000002C44: 7EFC0B7E
	v_cvt_f32_i32_e32 v127, v127                               // 000000002C48: 7EFE0B7F
	v_mul_f32_e32 v112, v18, v112                              // 000000002C4C: 0AE0E112
	v_mul_f32_e32 v113, v18, v113                              // 000000002C50: 0AE2E312
	v_mul_f32_e32 v114, v18, v114                              // 000000002C54: 0AE4E512
	v_mul_f32_e32 v115, v18, v115                              // 000000002C58: 0AE6E712
	v_mul_f32_e32 v116, v18, v116                              // 000000002C5C: 0AE8E912
	v_mul_f32_e32 v117, v18, v117                              // 000000002C60: 0AEAEB12
	v_mul_f32_e32 v118, v18, v118                              // 000000002C64: 0AECED12
	v_mul_f32_e32 v119, v18, v119                              // 000000002C68: 0AEEEF12
	v_mul_f32_e32 v120, v18, v120                              // 000000002C6C: 0AF0F112
	v_mul_f32_e32 v121, v18, v121                              // 000000002C70: 0AF2F312
	v_mul_f32_e32 v122, v18, v122                              // 000000002C74: 0AF4F512
	v_mul_f32_e32 v123, v18, v123                              // 000000002C78: 0AF6F712
	v_mul_f32_e32 v124, v18, v124                              // 000000002C7C: 0AF8F912
	v_mul_f32_e32 v125, v18, v125                              // 000000002C80: 0AFAFB12
	v_mul_f32_e32 v126, v18, v126                              // 000000002C84: 0AFCFD12
	v_mul_f32_e32 v127, v18, v127                              // 000000002C88: 0AFEFF12
	buffer_load_dwordx4 a[48:51], v28, s[16:19], 0 offen       // 000000002C8C: E05C1000 8084301C
	v_mul_f32_dpp v112, v248, v112 quad_perm:[0,0,0,0] row_mask:0xf bank_mask:0xf// 000000002C94: 0AE0E0FA FF0000F8
	v_mul_f32_dpp v113, v248, v113 quad_perm:[1,1,1,1] row_mask:0xf bank_mask:0xf// 000000002C9C: 0AE2E2FA FF0055F8
	v_mul_f32_dpp v114, v248, v114 quad_perm:[2,2,2,2] row_mask:0xf bank_mask:0xf// 000000002CA4: 0AE4E4FA FF00AAF8
	v_mul_f32_dpp v115, v248, v115 quad_perm:[3,3,3,3] row_mask:0xf bank_mask:0xf// 000000002CAC: 0AE6E6FA FF00FFF8
	v_mul_f32_dpp v116, v249, v116 quad_perm:[0,0,0,0] row_mask:0xf bank_mask:0xf// 000000002CB4: 0AE8E8FA FF0000F9
	v_mul_f32_dpp v117, v249, v117 quad_perm:[1,1,1,1] row_mask:0xf bank_mask:0xf// 000000002CBC: 0AEAEAFA FF0055F9
	v_mul_f32_dpp v118, v249, v118 quad_perm:[2,2,2,2] row_mask:0xf bank_mask:0xf// 000000002CC4: 0AECECFA FF00AAF9
	v_mul_f32_dpp v119, v249, v119 quad_perm:[3,3,3,3] row_mask:0xf bank_mask:0xf// 000000002CCC: 0AEEEEFA FF00FFF9
	v_mul_f32_dpp v120, v250, v120 quad_perm:[0,0,0,0] row_mask:0xf bank_mask:0xf// 000000002CD4: 0AF0F0FA FF0000FA
	v_mul_f32_dpp v121, v250, v121 quad_perm:[1,1,1,1] row_mask:0xf bank_mask:0xf// 000000002CDC: 0AF2F2FA FF0055FA
	v_mul_f32_dpp v122, v250, v122 quad_perm:[2,2,2,2] row_mask:0xf bank_mask:0xf// 000000002CE4: 0AF4F4FA FF00AAFA
	v_mul_f32_dpp v123, v250, v123 quad_perm:[3,3,3,3] row_mask:0xf bank_mask:0xf// 000000002CEC: 0AF6F6FA FF00FFFA
	v_mul_f32_dpp v124, v251, v124 quad_perm:[0,0,0,0] row_mask:0xf bank_mask:0xf// 000000002CF4: 0AF8F8FA FF0000FB
	v_mul_f32_dpp v125, v251, v125 quad_perm:[1,1,1,1] row_mask:0xf bank_mask:0xf// 000000002CFC: 0AFAFAFA FF0055FB
	v_mul_f32_dpp v126, v251, v126 quad_perm:[2,2,2,2] row_mask:0xf bank_mask:0xf// 000000002D04: 0AFCFCFA FF00AAFB
	v_mul_f32_dpp v127, v251, v127 quad_perm:[3,3,3,3] row_mask:0xf bank_mask:0xf// 000000002D0C: 0AFEFEFA FF00FFFB
	buffer_load_dwordx4 a[52:55], v28, s[16:19], 0 offen offset:1024// 000000002D14: E05C1400 8084341C
	v_mov_b32_e32 v48, v112                                    // 000000002D1C: 7E600370
	v_max3_f32 v48, v112, v113, v48                            // 000000002D20: D1D30030 04C2E370
	v_max3_f32 v48, v114, v115, v48                            // 000000002D28: D1D30030 04C2E772
	v_max3_f32 v48, v116, v117, v48                            // 000000002D30: D1D30030 04C2EB74
	v_max3_f32 v48, v118, v119, v48                            // 000000002D38: D1D30030 04C2EF76
	v_max3_f32 v48, v120, v121, v48                            // 000000002D40: D1D30030 04C2F378
	v_max3_f32 v48, v122, v123, v48                            // 000000002D48: D1D30030 04C2F77A
	v_max3_f32 v48, v124, v125, v48                            // 000000002D50: D1D30030 04C2FB7C
	v_max3_f32 v48, v126, v127, v48                            // 000000002D58: D1D30030 04C2FF7E
	ds_write_b32 v8, v48 offset:16896                          // 000000002D60: D81A4200 00003008
	buffer_load_dwordx4 a[56:59], v29, s[16:19], 0 offen       // 000000002D68: E05C1000 8084381D
	v_mul_u32_u24_dpp v64, v17, v54 row_newbcast:1 row_mask:0xf bank_mask:0xf// 000000002D70: 10806CFA FF015111
	v_mul_u32_u24_dpp v65, v17, v54 row_newbcast:5 row_mask:0xf bank_mask:0xf// 000000002D78: 10826CFA FF015511
	v_mul_u32_u24_dpp v66, v17, v54 row_newbcast:9 row_mask:0xf bank_mask:0xf// 000000002D80: 10846CFA FF015911
	v_mul_u32_u24_dpp v67, v17, v54 row_newbcast:13 row_mask:0xf bank_mask:0xf// 000000002D88: 10866CFA FF015D11
	v_add_u32_e32 v34, v64, v6                                 // 000000002D90: 68440D40
	v_add_u32_e32 v35, v65, v6                                 // 000000002D94: 68460D41
	v_add_u32_e32 v36, v66, v6                                 // 000000002D98: 68480D42
	v_add_u32_e32 v37, v67, v6                                 // 000000002D9C: 684A0D43
	v_mul_f32_e32 v208, v49, v208                              // 000000002DA0: 0BA1A131
	v_mul_f32_e32 v209, v49, v209                              // 000000002DA4: 0BA3A331
	v_mul_f32_e32 v210, v49, v210                              // 000000002DA8: 0BA5A531
	v_mul_f32_e32 v211, v49, v211                              // 000000002DAC: 0BA7A731
	v_mul_f32_e32 v212, v49, v212                              // 000000002DB0: 0BA9A931
	v_mul_f32_e32 v213, v49, v213                              // 000000002DB4: 0BABAB31
	v_mul_f32_e32 v214, v49, v214                              // 000000002DB8: 0BADAD31
	v_mul_f32_e32 v215, v49, v215                              // 000000002DBC: 0BAFAF31
	s_waitcnt lgkmcnt(0)                                       // 000000002DC0: BF8CC07F
	s_barrier                                                  // 000000002DC4: BF8A0000
	ds_read_b32 v64, v7 offset:16896                           // 000000002DC8: D86C4200 40000007
	ds_read_b32 v65, v7 offset:16960                           // 000000002DD0: D86C4240 41000007
	ds_read_b32 v66, v7 offset:17024                           // 000000002DD8: D86C4280 42000007
	ds_read_b32 v67, v7 offset:17088                           // 000000002DE0: D86C42C0 43000007
	ds_read_b32 v68, v7 offset:17152                           // 000000002DE8: D86C4300 44000007
	ds_read_b32 v69, v7 offset:17216                           // 000000002DF0: D86C4340 45000007
	ds_read_b32 v70, v7 offset:17280                           // 000000002DF8: D86C4380 46000007
	ds_read_b32 v71, v7 offset:17344                           // 000000002E00: D86C43C0 47000007
	ds_read_b32 v72, v7 offset:17408                           // 000000002E08: D86C4400 48000007
	ds_read_b32 v73, v7 offset:17472                           // 000000002E10: D86C4440 49000007
	ds_read_b32 v74, v7 offset:17536                           // 000000002E18: D86C4480 4A000007
	ds_read_b32 v75, v7 offset:17600                           // 000000002E20: D86C44C0 4B000007
	ds_read_b32 v76, v7 offset:17664                           // 000000002E28: D86C4500 4C000007
	ds_read_b32 v77, v7 offset:17728                           // 000000002E30: D86C4540 4D000007
	ds_read_b32 v78, v7 offset:17792                           // 000000002E38: D86C4580 4E000007
	ds_read_b32 v79, v7 offset:17856                           // 000000002E40: D86C45C0 4F000007
	buffer_load_dwordx4 a[60:63], v29, s[16:19], 0 offen offset:1024// 000000002E48: E05C1400 80843C1D
	v_cvt_f32_i32_e32 v176, v176                               // 000000002E50: 7F600BB0
	v_cvt_f32_i32_e32 v177, v177                               // 000000002E54: 7F620BB1
	v_cvt_f32_i32_e32 v178, v178                               // 000000002E58: 7F640BB2
	v_cvt_f32_i32_e32 v179, v179                               // 000000002E5C: 7F660BB3
	v_cvt_f32_i32_e32 v180, v180                               // 000000002E60: 7F680BB4
	v_cvt_f32_i32_e32 v181, v181                               // 000000002E64: 7F6A0BB5
	v_cvt_f32_i32_e32 v182, v182                               // 000000002E68: 7F6C0BB6
	v_cvt_f32_i32_e32 v183, v183                               // 000000002E6C: 7F6E0BB7
	v_mul_f32_e32 v176, v44, v176                              // 000000002E70: 0B61612C
	v_mul_f32_e32 v177, v44, v177                              // 000000002E74: 0B63632C
	v_mul_f32_e32 v178, v44, v178                              // 000000002E78: 0B65652C
	v_mul_f32_e32 v179, v44, v179                              // 000000002E7C: 0B67672C
	v_mul_f32_e32 v180, v44, v180                              // 000000002E80: 0B69692C
	v_mul_f32_e32 v181, v44, v181                              // 000000002E84: 0B6B6B2C
	v_mul_f32_e32 v182, v44, v182                              // 000000002E88: 0B6D6D2C
	v_mul_f32_e32 v183, v44, v183                              // 000000002E8C: 0B6F6F2C
	s_waitcnt lgkmcnt(0)                                       // 000000002E90: BF8CC07F
	v_max3_f32 v48, v64, v65, v48                              // 000000002E94: D1D30030 04C28340
	v_max3_f32 v48, v66, v67, v48                              // 000000002E9C: D1D30030 04C28742
	v_max3_f32 v48, v68, v69, v48                              // 000000002EA4: D1D30030 04C28B44
	v_max3_f32 v48, v70, v71, v48                              // 000000002EAC: D1D30030 04C28F46
	v_max3_f32 v48, v72, v73, v48                              // 000000002EB4: D1D30030 04C29348
	v_max3_f32 v48, v74, v75, v48                              // 000000002EBC: D1D30030 04C2974A
	v_max3_f32 v48, v76, v77, v48                              // 000000002EC4: D1D30030 04C29B4C
	v_max3_f32 v48, v78, v79, v48                              // 000000002ECC: D1D30030 04C29F4E
	buffer_load_dwordx4 a[96:99], v34, s[20:23], 0 offen       // 000000002ED4: E05C1000 80856022
	v_mov_b32_e32 v64, 0xff800000                              // 000000002EDC: 7E8002FF FF800000
	v_cmp_eq_u32_e64 s[40:41], v64, v11                        // 000000002EE4: D0CA0028 00021740
	s_nop 1                                                    // 000000002EEC: BF800001
	v_max_f32_e32 v15, v48, v11                                // 000000002EF0: 161E1730
	v_mul_f32_e32 v53, s64, v15                                // 000000002EF4: 0A6A1E40
	v_fma_f32 v112, v112, s64, -v53                            // 000000002EF8: D1CB0070 84D48170
	v_fma_f32 v113, v113, s64, -v53                            // 000000002F00: D1CB0071 84D48171
	v_fma_f32 v114, v114, s64, -v53                            // 000000002F08: D1CB0072 84D48172
	v_fma_f32 v115, v115, s64, -v53                            // 000000002F10: D1CB0073 84D48173
	v_fma_f32 v116, v116, s64, -v53                            // 000000002F18: D1CB0074 84D48174
	v_fma_f32 v117, v117, s64, -v53                            // 000000002F20: D1CB0075 84D48175
	v_fma_f32 v118, v118, s64, -v53                            // 000000002F28: D1CB0076 84D48176
	v_fma_f32 v119, v119, s64, -v53                            // 000000002F30: D1CB0077 84D48177
	v_fma_f32 v120, v120, s64, -v53                            // 000000002F38: D1CB0078 84D48178
	v_fma_f32 v121, v121, s64, -v53                            // 000000002F40: D1CB0079 84D48179
	v_fma_f32 v122, v122, s64, -v53                            // 000000002F48: D1CB007A 84D4817A
	v_fma_f32 v123, v123, s64, -v53                            // 000000002F50: D1CB007B 84D4817B
	v_fma_f32 v124, v124, s64, -v53                            // 000000002F58: D1CB007C 84D4817C
	v_fma_f32 v125, v125, s64, -v53                            // 000000002F60: D1CB007D 84D4817D
	v_fma_f32 v126, v126, s64, -v53                            // 000000002F68: D1CB007E 84D4817E
	v_fma_f32 v127, v127, s64, -v53                            // 000000002F70: D1CB007F 84D4817F
	buffer_load_dwordx4 a[100:103], v35, s[20:23], 0 offen     // 000000002F78: E05C1000 80856423
	v_exp_f32_e32 v112, v112                                   // 000000002F80: 7EE04170
	v_exp_f32_e32 v113, v113                                   // 000000002F84: 7EE24171
	v_exp_f32_e32 v114, v114                                   // 000000002F88: 7EE44172
	v_exp_f32_e32 v115, v115                                   // 000000002F8C: 7EE64173
	v_exp_f32_e32 v116, v116                                   // 000000002F90: 7EE84174
	v_exp_f32_e32 v117, v117                                   // 000000002F94: 7EEA4175
	v_exp_f32_e32 v118, v118                                   // 000000002F98: 7EEC4176
	v_exp_f32_e32 v119, v119                                   // 000000002F9C: 7EEE4177
	v_exp_f32_e32 v120, v120                                   // 000000002FA0: 7EF04178
	v_exp_f32_e32 v121, v121                                   // 000000002FA4: 7EF24179
	v_exp_f32_e32 v122, v122                                   // 000000002FA8: 7EF4417A
	v_exp_f32_e32 v123, v123                                   // 000000002FAC: 7EF6417B
	v_exp_f32_e32 v124, v124                                   // 000000002FB0: 7EF8417C
	v_exp_f32_e32 v125, v125                                   // 000000002FB4: 7EFA417D
	v_exp_f32_e32 v126, v126                                   // 000000002FB8: 7EFC417E
	v_exp_f32_e32 v127, v127                                   // 000000002FBC: 7EFE417F
	buffer_load_dwordx4 a[104:107], v36, s[20:23], 0 offen     // 000000002FC0: E05C1000 80856824
	v_mul_f32_dpp v240, v252, v112 quad_perm:[0,0,0,0] row_mask:0xf bank_mask:0xf// 000000002FC8: 0BE0E0FA FF0000FC
	v_mul_f32_dpp v241, v252, v113 quad_perm:[1,1,1,1] row_mask:0xf bank_mask:0xf// 000000002FD0: 0BE2E2FA FF0055FC
	v_mul_f32_dpp v242, v252, v114 quad_perm:[2,2,2,2] row_mask:0xf bank_mask:0xf// 000000002FD8: 0BE4E4FA FF00AAFC
	v_mul_f32_dpp v243, v252, v115 quad_perm:[3,3,3,3] row_mask:0xf bank_mask:0xf// 000000002FE0: 0BE6E6FA FF00FFFC
	v_mul_f32_dpp v244, v253, v116 quad_perm:[0,0,0,0] row_mask:0xf bank_mask:0xf// 000000002FE8: 0BE8E8FA FF0000FD
	v_mul_f32_dpp v245, v253, v117 quad_perm:[1,1,1,1] row_mask:0xf bank_mask:0xf// 000000002FF0: 0BEAEAFA FF0055FD
	v_mul_f32_dpp v246, v253, v118 quad_perm:[2,2,2,2] row_mask:0xf bank_mask:0xf// 000000002FF8: 0BECECFA FF00AAFD
	v_mul_f32_dpp v247, v253, v119 quad_perm:[3,3,3,3] row_mask:0xf bank_mask:0xf// 000000003000: 0BEEEEFA FF00FFFD
	v_mul_f32_dpp v248, v254, v120 quad_perm:[0,0,0,0] row_mask:0xf bank_mask:0xf// 000000003008: 0BF0F0FA FF0000FE
	v_mul_f32_dpp v249, v254, v121 quad_perm:[1,1,1,1] row_mask:0xf bank_mask:0xf// 000000003010: 0BF2F2FA FF0055FE
	v_mul_f32_dpp v250, v254, v122 quad_perm:[2,2,2,2] row_mask:0xf bank_mask:0xf// 000000003018: 0BF4F4FA FF00AAFE
	v_mul_f32_dpp v251, v254, v123 quad_perm:[3,3,3,3] row_mask:0xf bank_mask:0xf// 000000003020: 0BF6F6FA FF00FFFE
	v_mul_f32_dpp v252, v255, v124 quad_perm:[0,0,0,0] row_mask:0xf bank_mask:0xf// 000000003028: 0BF8F8FA FF0000FF
	v_mul_f32_dpp v253, v255, v125 quad_perm:[1,1,1,1] row_mask:0xf bank_mask:0xf// 000000003030: 0BFAFAFA FF0055FF
	v_mul_f32_dpp v254, v255, v126 quad_perm:[2,2,2,2] row_mask:0xf bank_mask:0xf// 000000003038: 0BFCFCFA FF00AAFF
	v_mul_f32_dpp v255, v255, v127 quad_perm:[3,3,3,3] row_mask:0xf bank_mask:0xf// 000000003040: 0BFEFEFA FF00FFFF
	v_mov_b32_e32 v48, 0x358637bd                              // 000000003048: 7E6002FF 358637BD
	v_max3_f32 v48, |v240|, |v241|, v48                        // 000000003050: D1D30330 04C3E3F0
	v_max3_f32 v48, |v242|, |v243|, v48                        // 000000003058: D1D30330 04C3E7F2
	v_max3_f32 v48, |v244|, |v245|, v48                        // 000000003060: D1D30330 04C3EBF4
	v_max3_f32 v48, |v246|, |v247|, v48                        // 000000003068: D1D30330 04C3EFF6
	v_max3_f32 v48, |v248|, |v249|, v48                        // 000000003070: D1D30330 04C3F3F8
	v_max3_f32 v48, |v250|, |v251|, v48                        // 000000003078: D1D30330 04C3F7FA
	v_max3_f32 v48, |v252|, |v253|, v48                        // 000000003080: D1D30330 04C3FBFC
	v_max3_f32 v48, |v254|, |v255|, v48                        // 000000003088: D1D30330 04C3FFFE
	buffer_load_dwordx4 a[108:111], v37, s[20:23], 0 offen     // 000000003090: E05C1000 80856C25
	ds_write_b32 v8, v48 offset:20992                          // 000000003098: D81A5200 00003008
	v_sub_f32_e32 v49, v11, v15                                // 0000000030A0: 04621F0B
	v_cndmask_b32_e64 v49, v49, 0, s[40:41]                    // 0000000030A4: D1000031 00A10131
	v_mov_b32_e32 v11, v15                                     // 0000000030AC: 7E16030F
	v_mul_f32_e32 v49, s64, v49                                // 0000000030B0: 0A626240
	v_exp_f32_e32 v49, v49                                     // 0000000030B4: 7E624131
	s_waitcnt lgkmcnt(0)                                       // 0000000030B8: BF8CC07F
	s_barrier                                                  // 0000000030BC: BF8A0000
	ds_read_b32 v64, v7 offset:20992                           // 0000000030C0: D86C5200 40000007
	ds_read_b32 v65, v7 offset:21056                           // 0000000030C8: D86C5240 41000007
	ds_read_b32 v66, v7 offset:21120                           // 0000000030D0: D86C5280 42000007
	ds_read_b32 v67, v7 offset:21184                           // 0000000030D8: D86C52C0 43000007
	ds_read_b32 v68, v7 offset:21248                           // 0000000030E0: D86C5300 44000007
	ds_read_b32 v69, v7 offset:21312                           // 0000000030E8: D86C5340 45000007
	ds_read_b32 v70, v7 offset:21376                           // 0000000030F0: D86C5380 46000007
	ds_read_b32 v71, v7 offset:21440                           // 0000000030F8: D86C53C0 47000007
	ds_read_b32 v72, v7 offset:21504                           // 000000003100: D86C5400 48000007
	ds_read_b32 v73, v7 offset:21568                           // 000000003108: D86C5440 49000007
	ds_read_b32 v74, v7 offset:21632                           // 000000003110: D86C5480 4A000007
	ds_read_b32 v75, v7 offset:21696                           // 000000003118: D86C54C0 4B000007
	ds_read_b32 v76, v7 offset:21760                           // 000000003120: D86C5500 4C000007
	ds_read_b32 v77, v7 offset:21824                           // 000000003128: D86C5540 4D000007
	ds_read_b32 v78, v7 offset:21888                           // 000000003130: D86C5580 4E000007
	ds_read_b32 v79, v7 offset:21952                           // 000000003138: D86C55C0 4F000007
	v_mul_f32_e32 v38, v49, v38                                // 000000003140: 0A4C4D31
	v_mov_b32_e32 v15, v112                                    // 000000003144: 7E1E0370
	v_add_f32_e32 v15, v113, v15                               // 000000003148: 021E1F71
	v_add_f32_e32 v15, v114, v15                               // 00000000314C: 021E1F72
	v_add_f32_e32 v15, v115, v15                               // 000000003150: 021E1F73
	v_add_f32_e32 v15, v116, v15                               // 000000003154: 021E1F74
	v_add_f32_e32 v15, v117, v15                               // 000000003158: 021E1F75
	v_add_f32_e32 v15, v118, v15                               // 00000000315C: 021E1F76
	v_add_f32_e32 v15, v119, v15                               // 000000003160: 021E1F77
	v_add_f32_e32 v15, v120, v15                               // 000000003164: 021E1F78
	v_add_f32_e32 v15, v121, v15                               // 000000003168: 021E1F79
	v_add_f32_e32 v15, v122, v15                               // 00000000316C: 021E1F7A
	v_add_f32_e32 v15, v123, v15                               // 000000003170: 021E1F7B
	v_add_f32_e32 v15, v124, v15                               // 000000003174: 021E1F7C
	v_add_f32_e32 v15, v125, v15                               // 000000003178: 021E1F7D
	v_add_f32_e32 v15, v126, v15                               // 00000000317C: 021E1F7E
	v_add_f32_e32 v15, v127, v15                               // 000000003180: 021E1F7F
	v_add_f32_e32 v38, v15, v38                                // 000000003184: 024C4D0F
	s_waitcnt lgkmcnt(0)                                       // 000000003188: BF8CC07F
	v_max3_f32 v48, |v64|, |v65|, v48                          // 00000000318C: D1D30330 04C28340
	v_max3_f32 v48, |v66|, |v67|, v48                          // 000000003194: D1D30330 04C28742
	v_max3_f32 v48, |v68|, |v69|, v48                          // 00000000319C: D1D30330 04C28B44
	v_max3_f32 v48, |v70|, |v71|, v48                          // 0000000031A4: D1D30330 04C28F46
	v_max3_f32 v48, |v72|, |v73|, v48                          // 0000000031AC: D1D30330 04C29348
	v_max3_f32 v48, |v74|, |v75|, v48                          // 0000000031B4: D1D30330 04C2974A
	v_max3_f32 v48, |v76|, |v77|, v48                          // 0000000031BC: D1D30330 04C29B4C
	v_max3_f32 v48, |v78|, |v79|, v48                          // 0000000031C4: D1D30330 04C29F4E
	s_nop 2                                                    // 0000000031CC: BF800002
	v_rcp_f32_e32 v48, v48                                     // 0000000031D0: 7E604530
	s_nop 1                                                    // 0000000031D4: BF800001
	v_mul_f32_e32 v48, 0x42fe0000, v48                         // 0000000031D8: 0A6060FF 42FE0000
	v_mul_f32_e32 v112, v48, v240                              // 0000000031E0: 0AE1E130
	v_mul_f32_e32 v113, v48, v241                              // 0000000031E4: 0AE3E330
	v_mul_f32_e32 v114, v48, v242                              // 0000000031E8: 0AE5E530
	v_mul_f32_e32 v115, v48, v243                              // 0000000031EC: 0AE7E730
	v_mul_f32_e32 v116, v48, v244                              // 0000000031F0: 0AE9E930
	v_mul_f32_e32 v117, v48, v245                              // 0000000031F4: 0AEBEB30
	v_mul_f32_e32 v118, v48, v246                              // 0000000031F8: 0AEDED30
	v_mul_f32_e32 v119, v48, v247                              // 0000000031FC: 0AEFEF30
	v_mul_f32_e32 v120, v48, v248                              // 000000003200: 0AF1F130
	v_mul_f32_e32 v121, v48, v249                              // 000000003204: 0AF3F330
	v_mul_f32_e32 v122, v48, v250                              // 000000003208: 0AF5F530
	v_mul_f32_e32 v123, v48, v251                              // 00000000320C: 0AF7F730
	v_mul_f32_e32 v124, v48, v252                              // 000000003210: 0AF9F930
	v_mul_f32_e32 v125, v48, v253                              // 000000003214: 0AFBFB30
	v_mul_f32_e32 v126, v48, v254                              // 000000003218: 0AFDFD30
	v_mul_f32_e32 v127, v48, v255                              // 00000000321C: 0AFFFF30
	v_cvt_i32_f32_e32 v112, v112                               // 000000003220: 7EE01170
	v_cvt_i32_f32_e32 v113, v113                               // 000000003224: 7EE21171
	v_cvt_i32_f32_e32 v114, v114                               // 000000003228: 7EE41172
	v_cvt_i32_f32_e32 v115, v115                               // 00000000322C: 7EE61173
	v_cvt_i32_f32_e32 v116, v116                               // 000000003230: 7EE81174
	v_cvt_i32_f32_e32 v117, v117                               // 000000003234: 7EEA1175
	v_cvt_i32_f32_e32 v118, v118                               // 000000003238: 7EEC1176
	v_cvt_i32_f32_e32 v119, v119                               // 00000000323C: 7EEE1177
	v_cvt_i32_f32_e32 v120, v120                               // 000000003240: 7EF01178
	v_cvt_i32_f32_e32 v121, v121                               // 000000003244: 7EF21179
	v_cvt_i32_f32_e32 v122, v122                               // 000000003248: 7EF4117A
	v_cvt_i32_f32_e32 v123, v123                               // 00000000324C: 7EF6117B
	v_cvt_i32_f32_e32 v124, v124                               // 000000003250: 7EF8117C
	v_cvt_i32_f32_e32 v125, v125                               // 000000003254: 7EFA117D
	v_cvt_i32_f32_e32 v126, v126                               // 000000003258: 7EFC117E
	v_cvt_i32_f32_e32 v127, v127                               // 00000000325C: 7EFE117F
	v_perm_b32 v112, v113, v112, s53                           // 000000003260: D1ED0070 00D6E171
	v_perm_b32 v112, v114, v112, s54                           // 000000003268: D1ED0070 00DAE172
	v_perm_b32 v112, v115, v112, s55                           // 000000003270: D1ED0070 00DEE173
	v_perm_b32 v113, v117, v116, s53                           // 000000003278: D1ED0071 00D6E975
	v_perm_b32 v113, v118, v113, s54                           // 000000003280: D1ED0071 00DAE376
	v_perm_b32 v113, v119, v113, s55                           // 000000003288: D1ED0071 00DEE377
	v_perm_b32 v114, v121, v120, s53                           // 000000003290: D1ED0072 00D6F179
	v_perm_b32 v114, v122, v114, s54                           // 000000003298: D1ED0072 00DAE57A
	v_perm_b32 v114, v123, v114, s55                           // 0000000032A0: D1ED0072 00DEE57B
	v_perm_b32 v115, v125, v124, s53                           // 0000000032A8: D1ED0073 00D6F97D
	v_perm_b32 v115, v126, v115, s54                           // 0000000032B0: D1ED0073 00DAE77E
	v_perm_b32 v115, v127, v115, s55                           // 0000000032B8: D1ED0073 00DEE77F
	ds_write_b32 v10, v112 offset:25088                        // 0000000032C0: D81A6200 0000700A
	ds_write_b32 v10, v113 offset:26112                        // 0000000032C8: D81A6600 0000710A
	ds_write_b32 v10, v114 offset:27136                        // 0000000032D0: D81A6A00 0000720A
	ds_write_b32 v10, v115 offset:28160                        // 0000000032D8: D81A6E00 0000730A
	v_add_f32_e32 v208, v208, v176                             // 0000000032E0: 03A161D0
	v_add_f32_e32 v209, v209, v177                             // 0000000032E4: 03A363D1
	v_add_f32_e32 v210, v210, v178                             // 0000000032E8: 03A565D2
	v_add_f32_e32 v211, v211, v179                             // 0000000032EC: 03A767D3
	v_add_f32_e32 v212, v212, v180                             // 0000000032F0: 03A969D4
	v_add_f32_e32 v213, v213, v181                             // 0000000032F4: 03AB6BD5
	v_add_f32_e32 v214, v214, v182                             // 0000000032F8: 03AD6DD6
	v_add_f32_e32 v215, v215, v183                             // 0000000032FC: 03AF6FD7
	v_rcp_f32_e32 v44, v48                                     // 000000003300: 7E584530
	s_waitcnt lgkmcnt(0)                                       // 000000003304: BF8CC07F
	s_barrier                                                  // 000000003308: BF8A0000
	ds_read_b64 v[112:113], v9 offset:25088                    // 00000000330C: D8EC6200 70000009
	ds_read_b64 v[114:115], v9 offset:25216                    // 000000003314: D8EC6280 72000009
	ds_read_b64 v[116:117], v9 offset:26112                    // 00000000331C: D8EC6600 74000009
	ds_read_b64 v[118:119], v9 offset:26240                    // 000000003324: D8EC6680 76000009
	ds_read_b64 v[120:121], v9 offset:27136                    // 00000000332C: D8EC6A00 78000009
	ds_read_b64 v[122:123], v9 offset:27264                    // 000000003334: D8EC6A80 7A000009
	ds_read_b64 v[124:125], v9 offset:28160                    // 00000000333C: D8EC6E00 7C000009
	ds_read_b64 v[126:127], v9 offset:28288                    // 000000003344: D8EC6E80 7E000009
	s_waitcnt vmcnt(15)                                        // 00000000334C: BF8C0F7F
	s_waitcnt lgkmcnt(7)                                       // 000000003350: BF8CC77F
	v_mfma_i32_16x16x32_i8 v[176:179], a[64:65], v[112:113], 0 // 000000003354: D3D700B0 0A02E140
	s_waitcnt lgkmcnt(6)                                       // 00000000335C: BF8CC67F
	v_mfma_i32_16x16x32_i8 v[176:179], a[66:67], v[114:115], v[176:179]// 000000003360: D3D700B0 0EC2E542
	buffer_load_dwordx4 a[112:115], v34, s[20:23], 0 offen offset:1024// 000000003368: E05C1400 80857022
	s_waitcnt lgkmcnt(5)                                       // 000000003370: BF8CC57F
	v_mfma_i32_16x16x32_i8 v[176:179], a[68:69], v[116:117], v[176:179]// 000000003374: D3D700B0 0EC2E944
	s_waitcnt lgkmcnt(4)                                       // 00000000337C: BF8CC47F
	v_mfma_i32_16x16x32_i8 v[176:179], a[70:71], v[118:119], v[176:179]// 000000003380: D3D700B0 0EC2ED46
	s_waitcnt lgkmcnt(3)                                       // 000000003388: BF8CC37F
	v_mfma_i32_16x16x32_i8 v[176:179], a[72:73], v[120:121], v[176:179]// 00000000338C: D3D700B0 0EC2F148
	s_waitcnt lgkmcnt(2)                                       // 000000003394: BF8CC27F
	v_mfma_i32_16x16x32_i8 v[176:179], a[74:75], v[122:123], v[176:179]// 000000003398: D3D700B0 0EC2F54A
	buffer_load_dwordx4 a[116:119], v35, s[20:23], 0 offen offset:1024// 0000000033A0: E05C1400 80857423
	s_waitcnt lgkmcnt(1)                                       // 0000000033A8: BF8CC17F
	v_mfma_i32_16x16x32_i8 v[176:179], a[76:77], v[124:125], v[176:179]// 0000000033AC: D3D700B0 0EC2F94C
	s_waitcnt lgkmcnt(0)                                       // 0000000033B4: BF8CC07F
	v_mfma_i32_16x16x32_i8 v[176:179], a[78:79], v[126:127], v[176:179]// 0000000033B8: D3D700B0 0EC2FD4E
	v_mfma_i32_16x16x32_i8 v[180:183], a[80:81], v[112:113], 0 // 0000000033C0: D3D700B4 0A02E150
	v_mfma_i32_16x16x32_i8 v[180:183], a[82:83], v[114:115], v[180:183]// 0000000033C8: D3D700B4 0ED2E552
	buffer_load_dwordx4 a[120:123], v36, s[20:23], 0 offen offset:1024// 0000000033D0: E05C1400 80857824
	v_mfma_i32_16x16x32_i8 v[180:183], a[84:85], v[116:117], v[180:183]// 0000000033D8: D3D700B4 0ED2E954
	v_mfma_i32_16x16x32_i8 v[180:183], a[86:87], v[118:119], v[180:183]// 0000000033E0: D3D700B4 0ED2ED56
	v_mfma_i32_16x16x32_i8 v[180:183], a[88:89], v[120:121], v[180:183]// 0000000033E8: D3D700B4 0ED2F158
	v_mfma_i32_16x16x32_i8 v[180:183], a[90:91], v[122:123], v[180:183]// 0000000033F0: D3D700B4 0ED2F55A
	buffer_load_dwordx4 a[124:127], v37, s[20:23], 0 offen offset:1024// 0000000033F8: E05C1400 80857C25
	v_mfma_i32_16x16x32_i8 v[180:183], a[92:93], v[124:125], v[180:183]// 000000003400: D3D700B4 0ED2F95C
	s_lshr_b32 s57, s70, 4                                     // 000000003408: 8F398446
	s_add_u32 s57, 48, s57                                     // 00000000340C: 803939B0
	v_mfma_i32_16x16x32_i8 v[180:183], a[94:95], v[126:127], v[180:183]// 000000003410: D3D700B4 0ED2FD5E
	s_cmp_ge_u32 s57, s73                                      // 000000003418: BF094939
	s_cselect_b32 s56, 0, s56                                  // 00000000341C: 85383880
	v_add_u32_e32 v1, s56, v1                                  // 000000003420: 68020238
	s_addk_i32 s70, 0x100                                      // 000000003424: B7460100
	s_cmp_lt_i32 s70, s71                                      // 000000003428: BF044746
	s_cbranch_scc0 label_070B                                  // 00000000342C: BF84027F
	s_waitcnt vmcnt(8) lgkmcnt(0)                              // 000000003430: BF8C0078
	v_mul_u32_u24_dpp v64, v16, v54 row_newbcast:0 row_mask:0xf bank_mask:0xf// 000000003434: 10806CFA FF015010
	v_mul_u32_u24_dpp v65, v16, v54 row_newbcast:4 row_mask:0xf bank_mask:0xf// 00000000343C: 10826CFA FF015410
	v_mul_u32_u24_dpp v66, v16, v54 row_newbcast:8 row_mask:0xf bank_mask:0xf// 000000003444: 10846CFA FF015810
	v_mul_u32_u24_dpp v67, v16, v54 row_newbcast:12 row_mask:0xf bank_mask:0xf// 00000000344C: 10866CFA FF015C10
	v_add_u32_e32 v22, v64, v5                                 // 000000003454: 682C0B40
	v_add_u32_e32 v23, v65, v5                                 // 000000003458: 682E0B41
	v_add_u32_e32 v24, v66, v5                                 // 00000000345C: 68300B42
	v_add_u32_e32 v25, v67, v5                                 // 000000003460: 68320B43
	v_mul_u32_u24_dpp v64, v16, v63 quad_perm:[0,0,0,0] row_mask:0xf bank_mask:0xf// 000000003464: 10807EFA FF000010
	v_add_u32_e32 v2, v64, v59                                 // 00000000346C: 68047740
	v_mul_u32_u24_dpp v64, v16, v63 quad_perm:[0,0,0,0] row_mask:0xf bank_mask:0xf// 000000003470: 10807EFA FF000010
	v_add_u32_e32 v55, v64, v60                                // 000000003478: 686E7940
	v_mfma_i32_16x16x32_i8 v[112:115], a[32:33], v[80:81], 0   // 00000000347C: D3D70070 0A02A120
	v_mfma_i32_16x16x32_i8 v[112:115], a[34:35], v[82:83], v[112:115]// 000000003484: D3D70070 0DC2A522
	buffer_load_dwordx4 a[0:3], v22, s[16:19], 0 offen         // 00000000348C: E05C1000 80840016
	v_mfma_i32_16x16x32_i8 v[112:115], a[36:37], v[84:85], v[112:115]// 000000003494: D3D70070 0DC2A924
	v_mfma_i32_16x16x32_i8 v[112:115], a[38:39], v[86:87], v[112:115]// 00000000349C: D3D70070 0DC2AD26
	buffer_load_dword v17, v1, s[24:27], 0 offen               // 0000000034A4: E0501000 80061101
	v_mfma_i32_16x16x32_i8 v[116:119], a[40:41], v[80:81], 0   // 0000000034AC: D3D70074 0A02A128
	v_mfma_i32_16x16x32_i8 v[116:119], a[42:43], v[82:83], v[116:119]// 0000000034B4: D3D70074 0DD2A52A
	buffer_load_dwordx4 a[4:7], v22, s[16:19], 0 offen offset:1024// 0000000034BC: E05C1400 80840416
	v_mfma_i32_16x16x32_i8 v[116:119], a[44:45], v[84:85], v[116:119]// 0000000034C4: D3D70074 0DD2A92C
	v_mfma_i32_16x16x32_i8 v[116:119], a[46:47], v[86:87], v[116:119]// 0000000034CC: D3D70074 0DD2AD2E
	v_mfma_i32_16x16x32_i8 v[120:123], a[48:49], v[80:81], 0   // 0000000034D4: D3D70078 0A02A130
	v_mfma_i32_16x16x32_i8 v[120:123], a[50:51], v[82:83], v[120:123]// 0000000034DC: D3D70078 0DE2A532
	buffer_load_dwordx4 a[8:11], v23, s[16:19], 0 offen        // 0000000034E4: E05C1000 80840817
	v_mfma_i32_16x16x32_i8 v[120:123], a[52:53], v[84:85], v[120:123]// 0000000034EC: D3D70078 0DE2A934
	v_mfma_i32_16x16x32_i8 v[120:123], a[54:55], v[86:87], v[120:123]// 0000000034F4: D3D70078 0DE2AD36
	v_mfma_i32_16x16x32_i8 v[124:127], a[56:57], v[80:81], 0   // 0000000034FC: D3D7007C 0A02A138
	v_mfma_i32_16x16x32_i8 v[124:127], a[58:59], v[82:83], v[124:127]// 000000003504: D3D7007C 0DF2A53A
	buffer_load_dwordx4 a[12:15], v23, s[16:19], 0 offen offset:1024// 00000000350C: E05C1400 80840C17
	v_mfma_i32_16x16x32_i8 v[124:127], a[60:61], v[84:85], v[124:127]// 000000003514: D3D7007C 0DF2A93C
	v_mfma_i32_16x16x32_i8 v[124:127], a[62:63], v[86:87], v[124:127]// 00000000351C: D3D7007C 0DF2AD3E
	buffer_load_dword v42, v2, s[32:35], 0 offen               // 000000003524: E0501000 80082A02
	v_mov_b32_dpp v64, v43 row_shr:4 row_mask:0xf bank_mask:0xf// 00000000352C: 7E8002FA FF01142B
	v_mov_b32_dpp v65, v43 row_shl:4 row_mask:0xf bank_mask:0xf// 000000003534: 7E8202FA FF01042B
	v_cndmask_b32_e64 v248, v43, v64, s[44:45]                 // 00000000353C: D10000F8 00B2812B
	v_cndmask_b32_e64 v249, v65, v43, s[44:45]                 // 000000003544: D10000F9 00B25741
	v_mov_b32_dpp v64, v248 row_shr:8 row_mask:0xf bank_mask:0xf// 00000000354C: 7E8002FA FF0118F8
	v_mov_b32_dpp v65, v248 row_shl:8 row_mask:0xf bank_mask:0xf// 000000003554: 7E8202FA FF0108F8
	v_mov_b32_dpp v66, v249 row_shr:8 row_mask:0xf bank_mask:0xf// 00000000355C: 7E8402FA FF0118F9
	v_mov_b32_dpp v67, v249 row_shl:8 row_mask:0xf bank_mask:0xf// 000000003564: 7E8602FA FF0108F9
	v_mov_b32_e32 v68, v248                                    // 00000000356C: 7E8803F8
	v_mov_b32_e32 v69, v249                                    // 000000003570: 7E8A03F9
	v_cndmask_b32_e64 v248, v68, v64, s[42:43]                 // 000000003574: D10000F8 00AA8144
	v_cndmask_b32_e64 v250, v68, v65, s[78:79]                 // 00000000357C: D10000FA 013A8344
	v_cndmask_b32_e64 v249, v69, v66, s[42:43]                 // 000000003584: D10000F9 00AA8545
	v_cndmask_b32_e64 v251, v69, v67, s[78:79]                 // 00000000358C: D10000FB 013A8745
	v_mov_b32_dpp v64, v58 row_shr:4 row_mask:0xf bank_mask:0xf// 000000003594: 7E8002FA FF01143A
	v_mov_b32_dpp v65, v58 row_shl:4 row_mask:0xf bank_mask:0xf// 00000000359C: 7E8202FA FF01043A
	v_cndmask_b32_e64 v252, v58, v64, s[44:45]                 // 0000000035A4: D10000FC 00B2813A
	v_cndmask_b32_e64 v253, v65, v58, s[44:45]                 // 0000000035AC: D10000FD 00B27541
	v_mov_b32_dpp v64, v252 row_shr:8 row_mask:0xf bank_mask:0xf// 0000000035B4: 7E8002FA FF0118FC
	v_mov_b32_dpp v65, v252 row_shl:8 row_mask:0xf bank_mask:0xf// 0000000035BC: 7E8202FA FF0108FC
	v_mov_b32_dpp v66, v253 row_shr:8 row_mask:0xf bank_mask:0xf// 0000000035C4: 7E8402FA FF0118FD
	v_mov_b32_dpp v67, v253 row_shl:8 row_mask:0xf bank_mask:0xf// 0000000035CC: 7E8602FA FF0108FD
	v_mov_b32_e32 v68, v252                                    // 0000000035D4: 7E8803FC
	v_mov_b32_e32 v69, v253                                    // 0000000035D8: 7E8A03FD
	v_cndmask_b32_e64 v252, v68, v64, s[42:43]                 // 0000000035DC: D10000FC 00AA8144
	v_cndmask_b32_e64 v254, v68, v65, s[78:79]                 // 0000000035E4: D10000FE 013A8344
	v_cndmask_b32_e64 v253, v69, v66, s[42:43]                 // 0000000035EC: D10000FD 00AA8545
	v_cndmask_b32_e64 v255, v69, v67, s[78:79]                 // 0000000035F4: D10000FF 013A8745
	buffer_load_dword v57, v55, s[36:39], 0 offen              // 0000000035FC: E0501000 80093937
	v_cvt_f32_i32_e32 v112, v112                               // 000000003604: 7EE00B70
	v_cvt_f32_i32_e32 v113, v113                               // 000000003608: 7EE20B71
	v_cvt_f32_i32_e32 v114, v114                               // 00000000360C: 7EE40B72
	v_cvt_f32_i32_e32 v115, v115                               // 000000003610: 7EE60B73
	v_cvt_f32_i32_e32 v116, v116                               // 000000003614: 7EE80B74
	v_cvt_f32_i32_e32 v117, v117                               // 000000003618: 7EEA0B75
	v_cvt_f32_i32_e32 v118, v118                               // 00000000361C: 7EEC0B76
	v_cvt_f32_i32_e32 v119, v119                               // 000000003620: 7EEE0B77
	v_cvt_f32_i32_e32 v120, v120                               // 000000003624: 7EF00B78
	v_cvt_f32_i32_e32 v121, v121                               // 000000003628: 7EF20B79
	v_cvt_f32_i32_e32 v122, v122                               // 00000000362C: 7EF40B7A
	v_cvt_f32_i32_e32 v123, v123                               // 000000003630: 7EF60B7B
	v_cvt_f32_i32_e32 v124, v124                               // 000000003634: 7EF80B7C
	v_cvt_f32_i32_e32 v125, v125                               // 000000003638: 7EFA0B7D
	v_cvt_f32_i32_e32 v126, v126                               // 00000000363C: 7EFC0B7E
	v_cvt_f32_i32_e32 v127, v127                               // 000000003640: 7EFE0B7F
	v_mul_f32_e32 v112, v18, v112                              // 000000003644: 0AE0E112
	v_mul_f32_e32 v113, v18, v113                              // 000000003648: 0AE2E312
	v_mul_f32_e32 v114, v18, v114                              // 00000000364C: 0AE4E512
	v_mul_f32_e32 v115, v18, v115                              // 000000003650: 0AE6E712
	v_mul_f32_e32 v116, v18, v116                              // 000000003654: 0AE8E912
	v_mul_f32_e32 v117, v18, v117                              // 000000003658: 0AEAEB12
	v_mul_f32_e32 v118, v18, v118                              // 00000000365C: 0AECED12
	v_mul_f32_e32 v119, v18, v119                              // 000000003660: 0AEEEF12
	v_mul_f32_e32 v120, v18, v120                              // 000000003664: 0AF0F112
	v_mul_f32_e32 v121, v18, v121                              // 000000003668: 0AF2F312
	v_mul_f32_e32 v122, v18, v122                              // 00000000366C: 0AF4F512
	v_mul_f32_e32 v123, v18, v123                              // 000000003670: 0AF6F712
	v_mul_f32_e32 v124, v18, v124                              // 000000003674: 0AF8F912
	v_mul_f32_e32 v125, v18, v125                              // 000000003678: 0AFAFB12
	v_mul_f32_e32 v126, v18, v126                              // 00000000367C: 0AFCFD12
	v_mul_f32_e32 v127, v18, v127                              // 000000003680: 0AFEFF12
	buffer_load_dwordx4 a[16:19], v24, s[16:19], 0 offen       // 000000003684: E05C1000 80841018
	v_mul_f32_dpp v112, v248, v112 quad_perm:[0,0,0,0] row_mask:0xf bank_mask:0xf// 00000000368C: 0AE0E0FA FF0000F8
	v_mul_f32_dpp v113, v248, v113 quad_perm:[1,1,1,1] row_mask:0xf bank_mask:0xf// 000000003694: 0AE2E2FA FF0055F8
	v_mul_f32_dpp v114, v248, v114 quad_perm:[2,2,2,2] row_mask:0xf bank_mask:0xf// 00000000369C: 0AE4E4FA FF00AAF8
	v_mul_f32_dpp v115, v248, v115 quad_perm:[3,3,3,3] row_mask:0xf bank_mask:0xf// 0000000036A4: 0AE6E6FA FF00FFF8
	v_mul_f32_dpp v116, v249, v116 quad_perm:[0,0,0,0] row_mask:0xf bank_mask:0xf// 0000000036AC: 0AE8E8FA FF0000F9
	v_mul_f32_dpp v117, v249, v117 quad_perm:[1,1,1,1] row_mask:0xf bank_mask:0xf// 0000000036B4: 0AEAEAFA FF0055F9
	v_mul_f32_dpp v118, v249, v118 quad_perm:[2,2,2,2] row_mask:0xf bank_mask:0xf// 0000000036BC: 0AECECFA FF00AAF9
	v_mul_f32_dpp v119, v249, v119 quad_perm:[3,3,3,3] row_mask:0xf bank_mask:0xf// 0000000036C4: 0AEEEEFA FF00FFF9
	v_mul_f32_dpp v120, v250, v120 quad_perm:[0,0,0,0] row_mask:0xf bank_mask:0xf// 0000000036CC: 0AF0F0FA FF0000FA
	v_mul_f32_dpp v121, v250, v121 quad_perm:[1,1,1,1] row_mask:0xf bank_mask:0xf// 0000000036D4: 0AF2F2FA FF0055FA
	v_mul_f32_dpp v122, v250, v122 quad_perm:[2,2,2,2] row_mask:0xf bank_mask:0xf// 0000000036DC: 0AF4F4FA FF00AAFA
	v_mul_f32_dpp v123, v250, v123 quad_perm:[3,3,3,3] row_mask:0xf bank_mask:0xf// 0000000036E4: 0AF6F6FA FF00FFFA
	v_mul_f32_dpp v124, v251, v124 quad_perm:[0,0,0,0] row_mask:0xf bank_mask:0xf// 0000000036EC: 0AF8F8FA FF0000FB
	v_mul_f32_dpp v125, v251, v125 quad_perm:[1,1,1,1] row_mask:0xf bank_mask:0xf// 0000000036F4: 0AFAFAFA FF0055FB
	v_mul_f32_dpp v126, v251, v126 quad_perm:[2,2,2,2] row_mask:0xf bank_mask:0xf// 0000000036FC: 0AFCFCFA FF00AAFB
	v_mul_f32_dpp v127, v251, v127 quad_perm:[3,3,3,3] row_mask:0xf bank_mask:0xf// 000000003704: 0AFEFEFA FF00FFFB
	buffer_load_dwordx4 a[20:23], v24, s[16:19], 0 offen offset:1024// 00000000370C: E05C1400 80841418
	v_mov_b32_e32 v48, v112                                    // 000000003714: 7E600370
	v_max3_f32 v48, v112, v113, v48                            // 000000003718: D1D30030 04C2E370
	v_max3_f32 v48, v114, v115, v48                            // 000000003720: D1D30030 04C2E772
	v_max3_f32 v48, v116, v117, v48                            // 000000003728: D1D30030 04C2EB74
	v_max3_f32 v48, v118, v119, v48                            // 000000003730: D1D30030 04C2EF76
	v_max3_f32 v48, v120, v121, v48                            // 000000003738: D1D30030 04C2F378
	v_max3_f32 v48, v122, v123, v48                            // 000000003740: D1D30030 04C2F77A
	v_max3_f32 v48, v124, v125, v48                            // 000000003748: D1D30030 04C2FB7C
	v_max3_f32 v48, v126, v127, v48                            // 000000003750: D1D30030 04C2FF7E
	ds_write_b32 v8, v48 offset:16896                          // 000000003758: D81A4200 00003008
	buffer_load_dwordx4 a[24:27], v25, s[16:19], 0 offen       // 000000003760: E05C1000 80841819
	v_mul_u32_u24_dpp v64, v16, v54 row_newbcast:1 row_mask:0xf bank_mask:0xf// 000000003768: 10806CFA FF015110
	v_mul_u32_u24_dpp v65, v16, v54 row_newbcast:5 row_mask:0xf bank_mask:0xf// 000000003770: 10826CFA FF015510
	v_mul_u32_u24_dpp v66, v16, v54 row_newbcast:9 row_mask:0xf bank_mask:0xf// 000000003778: 10846CFA FF015910
	v_mul_u32_u24_dpp v67, v16, v54 row_newbcast:13 row_mask:0xf bank_mask:0xf// 000000003780: 10866CFA FF015D10
	v_add_u32_e32 v30, v64, v6                                 // 000000003788: 683C0D40
	v_add_u32_e32 v31, v65, v6                                 // 00000000378C: 683E0D41
	v_add_u32_e32 v32, v66, v6                                 // 000000003790: 68400D42
	v_add_u32_e32 v33, v67, v6                                 // 000000003794: 68420D43
	v_mul_f32_e32 v208, v49, v208                              // 000000003798: 0BA1A131
	v_mul_f32_e32 v209, v49, v209                              // 00000000379C: 0BA3A331
	v_mul_f32_e32 v210, v49, v210                              // 0000000037A0: 0BA5A531
	v_mul_f32_e32 v211, v49, v211                              // 0000000037A4: 0BA7A731
	v_mul_f32_e32 v212, v49, v212                              // 0000000037A8: 0BA9A931
	v_mul_f32_e32 v213, v49, v213                              // 0000000037AC: 0BABAB31
	v_mul_f32_e32 v214, v49, v214                              // 0000000037B0: 0BADAD31
	v_mul_f32_e32 v215, v49, v215                              // 0000000037B4: 0BAFAF31
	s_waitcnt lgkmcnt(0)                                       // 0000000037B8: BF8CC07F
	s_barrier                                                  // 0000000037BC: BF8A0000
	ds_read_b32 v64, v7 offset:16896                           // 0000000037C0: D86C4200 40000007
	ds_read_b32 v65, v7 offset:16960                           // 0000000037C8: D86C4240 41000007
	ds_read_b32 v66, v7 offset:17024                           // 0000000037D0: D86C4280 42000007
	ds_read_b32 v67, v7 offset:17088                           // 0000000037D8: D86C42C0 43000007
	ds_read_b32 v68, v7 offset:17152                           // 0000000037E0: D86C4300 44000007
	ds_read_b32 v69, v7 offset:17216                           // 0000000037E8: D86C4340 45000007
	ds_read_b32 v70, v7 offset:17280                           // 0000000037F0: D86C4380 46000007
	ds_read_b32 v71, v7 offset:17344                           // 0000000037F8: D86C43C0 47000007
	ds_read_b32 v72, v7 offset:17408                           // 000000003800: D86C4400 48000007
	ds_read_b32 v73, v7 offset:17472                           // 000000003808: D86C4440 49000007
	ds_read_b32 v74, v7 offset:17536                           // 000000003810: D86C4480 4A000007
	ds_read_b32 v75, v7 offset:17600                           // 000000003818: D86C44C0 4B000007
	ds_read_b32 v76, v7 offset:17664                           // 000000003820: D86C4500 4C000007
	ds_read_b32 v77, v7 offset:17728                           // 000000003828: D86C4540 4D000007
	ds_read_b32 v78, v7 offset:17792                           // 000000003830: D86C4580 4E000007
	ds_read_b32 v79, v7 offset:17856                           // 000000003838: D86C45C0 4F000007
	buffer_load_dwordx4 a[28:31], v25, s[16:19], 0 offen offset:1024// 000000003840: E05C1400 80841C19
	v_cvt_f32_i32_e32 v176, v176                               // 000000003848: 7F600BB0
	v_cvt_f32_i32_e32 v177, v177                               // 00000000384C: 7F620BB1
	v_cvt_f32_i32_e32 v178, v178                               // 000000003850: 7F640BB2
	v_cvt_f32_i32_e32 v179, v179                               // 000000003854: 7F660BB3
	v_cvt_f32_i32_e32 v180, v180                               // 000000003858: 7F680BB4
	v_cvt_f32_i32_e32 v181, v181                               // 00000000385C: 7F6A0BB5
	v_cvt_f32_i32_e32 v182, v182                               // 000000003860: 7F6C0BB6
	v_cvt_f32_i32_e32 v183, v183                               // 000000003864: 7F6E0BB7
	v_mul_f32_e32 v176, v44, v176                              // 000000003868: 0B61612C
	v_mul_f32_e32 v177, v44, v177                              // 00000000386C: 0B63632C
	v_mul_f32_e32 v178, v44, v178                              // 000000003870: 0B65652C
	v_mul_f32_e32 v179, v44, v179                              // 000000003874: 0B67672C
	v_mul_f32_e32 v180, v44, v180                              // 000000003878: 0B69692C
	v_mul_f32_e32 v181, v44, v181                              // 00000000387C: 0B6B6B2C
	v_mul_f32_e32 v182, v44, v182                              // 000000003880: 0B6D6D2C
	v_mul_f32_e32 v183, v44, v183                              // 000000003884: 0B6F6F2C
	s_waitcnt lgkmcnt(0)                                       // 000000003888: BF8CC07F
	v_max3_f32 v48, v64, v65, v48                              // 00000000388C: D1D30030 04C28340
	v_max3_f32 v48, v66, v67, v48                              // 000000003894: D1D30030 04C28742
	v_max3_f32 v48, v68, v69, v48                              // 00000000389C: D1D30030 04C28B44
	v_max3_f32 v48, v70, v71, v48                              // 0000000038A4: D1D30030 04C28F46
	v_max3_f32 v48, v72, v73, v48                              // 0000000038AC: D1D30030 04C29348
	v_max3_f32 v48, v74, v75, v48                              // 0000000038B4: D1D30030 04C2974A
	v_max3_f32 v48, v76, v77, v48                              // 0000000038BC: D1D30030 04C29B4C
	v_max3_f32 v48, v78, v79, v48                              // 0000000038C4: D1D30030 04C29F4E
	buffer_load_dwordx4 a[64:67], v30, s[20:23], 0 offen       // 0000000038CC: E05C1000 8085401E
	v_mov_b32_e32 v64, 0xff800000                              // 0000000038D4: 7E8002FF FF800000
	v_cmp_eq_u32_e64 s[40:41], v64, v11                        // 0000000038DC: D0CA0028 00021740
	s_nop 1                                                    // 0000000038E4: BF800001
	v_max_f32_e32 v15, v48, v11                                // 0000000038E8: 161E1730
	v_mul_f32_e32 v53, s64, v15                                // 0000000038EC: 0A6A1E40
	v_fma_f32 v112, v112, s64, -v53                            // 0000000038F0: D1CB0070 84D48170
	v_fma_f32 v113, v113, s64, -v53                            // 0000000038F8: D1CB0071 84D48171
	v_fma_f32 v114, v114, s64, -v53                            // 000000003900: D1CB0072 84D48172
	v_fma_f32 v115, v115, s64, -v53                            // 000000003908: D1CB0073 84D48173
	v_fma_f32 v116, v116, s64, -v53                            // 000000003910: D1CB0074 84D48174
	v_fma_f32 v117, v117, s64, -v53                            // 000000003918: D1CB0075 84D48175
	v_fma_f32 v118, v118, s64, -v53                            // 000000003920: D1CB0076 84D48176
	v_fma_f32 v119, v119, s64, -v53                            // 000000003928: D1CB0077 84D48177
	v_fma_f32 v120, v120, s64, -v53                            // 000000003930: D1CB0078 84D48178
	v_fma_f32 v121, v121, s64, -v53                            // 000000003938: D1CB0079 84D48179
	v_fma_f32 v122, v122, s64, -v53                            // 000000003940: D1CB007A 84D4817A
	v_fma_f32 v123, v123, s64, -v53                            // 000000003948: D1CB007B 84D4817B
	v_fma_f32 v124, v124, s64, -v53                            // 000000003950: D1CB007C 84D4817C
	v_fma_f32 v125, v125, s64, -v53                            // 000000003958: D1CB007D 84D4817D
	v_fma_f32 v126, v126, s64, -v53                            // 000000003960: D1CB007E 84D4817E
	v_fma_f32 v127, v127, s64, -v53                            // 000000003968: D1CB007F 84D4817F
	buffer_load_dwordx4 a[68:71], v31, s[20:23], 0 offen       // 000000003970: E05C1000 8085441F
	v_exp_f32_e32 v112, v112                                   // 000000003978: 7EE04170
	v_exp_f32_e32 v113, v113                                   // 00000000397C: 7EE24171
	v_exp_f32_e32 v114, v114                                   // 000000003980: 7EE44172
	v_exp_f32_e32 v115, v115                                   // 000000003984: 7EE64173
	v_exp_f32_e32 v116, v116                                   // 000000003988: 7EE84174
	v_exp_f32_e32 v117, v117                                   // 00000000398C: 7EEA4175
	v_exp_f32_e32 v118, v118                                   // 000000003990: 7EEC4176
	v_exp_f32_e32 v119, v119                                   // 000000003994: 7EEE4177
	v_exp_f32_e32 v120, v120                                   // 000000003998: 7EF04178
	v_exp_f32_e32 v121, v121                                   // 00000000399C: 7EF24179
	v_exp_f32_e32 v122, v122                                   // 0000000039A0: 7EF4417A
	v_exp_f32_e32 v123, v123                                   // 0000000039A4: 7EF6417B
	v_exp_f32_e32 v124, v124                                   // 0000000039A8: 7EF8417C
	v_exp_f32_e32 v125, v125                                   // 0000000039AC: 7EFA417D
	v_exp_f32_e32 v126, v126                                   // 0000000039B0: 7EFC417E
	v_exp_f32_e32 v127, v127                                   // 0000000039B4: 7EFE417F
	buffer_load_dwordx4 a[72:75], v32, s[20:23], 0 offen       // 0000000039B8: E05C1000 80854820
	v_mul_f32_dpp v240, v252, v112 quad_perm:[0,0,0,0] row_mask:0xf bank_mask:0xf// 0000000039C0: 0BE0E0FA FF0000FC
	v_mul_f32_dpp v241, v252, v113 quad_perm:[1,1,1,1] row_mask:0xf bank_mask:0xf// 0000000039C8: 0BE2E2FA FF0055FC
	v_mul_f32_dpp v242, v252, v114 quad_perm:[2,2,2,2] row_mask:0xf bank_mask:0xf// 0000000039D0: 0BE4E4FA FF00AAFC
	v_mul_f32_dpp v243, v252, v115 quad_perm:[3,3,3,3] row_mask:0xf bank_mask:0xf// 0000000039D8: 0BE6E6FA FF00FFFC
	v_mul_f32_dpp v244, v253, v116 quad_perm:[0,0,0,0] row_mask:0xf bank_mask:0xf// 0000000039E0: 0BE8E8FA FF0000FD
	v_mul_f32_dpp v245, v253, v117 quad_perm:[1,1,1,1] row_mask:0xf bank_mask:0xf// 0000000039E8: 0BEAEAFA FF0055FD
	v_mul_f32_dpp v246, v253, v118 quad_perm:[2,2,2,2] row_mask:0xf bank_mask:0xf// 0000000039F0: 0BECECFA FF00AAFD
	v_mul_f32_dpp v247, v253, v119 quad_perm:[3,3,3,3] row_mask:0xf bank_mask:0xf// 0000000039F8: 0BEEEEFA FF00FFFD
	v_mul_f32_dpp v248, v254, v120 quad_perm:[0,0,0,0] row_mask:0xf bank_mask:0xf// 000000003A00: 0BF0F0FA FF0000FE
	v_mul_f32_dpp v249, v254, v121 quad_perm:[1,1,1,1] row_mask:0xf bank_mask:0xf// 000000003A08: 0BF2F2FA FF0055FE
	v_mul_f32_dpp v250, v254, v122 quad_perm:[2,2,2,2] row_mask:0xf bank_mask:0xf// 000000003A10: 0BF4F4FA FF00AAFE
	v_mul_f32_dpp v251, v254, v123 quad_perm:[3,3,3,3] row_mask:0xf bank_mask:0xf// 000000003A18: 0BF6F6FA FF00FFFE
	v_mul_f32_dpp v252, v255, v124 quad_perm:[0,0,0,0] row_mask:0xf bank_mask:0xf// 000000003A20: 0BF8F8FA FF0000FF
	v_mul_f32_dpp v253, v255, v125 quad_perm:[1,1,1,1] row_mask:0xf bank_mask:0xf// 000000003A28: 0BFAFAFA FF0055FF
	v_mul_f32_dpp v254, v255, v126 quad_perm:[2,2,2,2] row_mask:0xf bank_mask:0xf// 000000003A30: 0BFCFCFA FF00AAFF
	v_mul_f32_dpp v255, v255, v127 quad_perm:[3,3,3,3] row_mask:0xf bank_mask:0xf// 000000003A38: 0BFEFEFA FF00FFFF
	v_mov_b32_e32 v48, 0x358637bd                              // 000000003A40: 7E6002FF 358637BD
	v_max3_f32 v48, |v240|, |v241|, v48                        // 000000003A48: D1D30330 04C3E3F0
	v_max3_f32 v48, |v242|, |v243|, v48                        // 000000003A50: D1D30330 04C3E7F2
	v_max3_f32 v48, |v244|, |v245|, v48                        // 000000003A58: D1D30330 04C3EBF4
	v_max3_f32 v48, |v246|, |v247|, v48                        // 000000003A60: D1D30330 04C3EFF6
	v_max3_f32 v48, |v248|, |v249|, v48                        // 000000003A68: D1D30330 04C3F3F8
	v_max3_f32 v48, |v250|, |v251|, v48                        // 000000003A70: D1D30330 04C3F7FA
	v_max3_f32 v48, |v252|, |v253|, v48                        // 000000003A78: D1D30330 04C3FBFC
	v_max3_f32 v48, |v254|, |v255|, v48                        // 000000003A80: D1D30330 04C3FFFE
	buffer_load_dwordx4 a[76:79], v33, s[20:23], 0 offen       // 000000003A88: E05C1000 80854C21
	ds_write_b32 v8, v48 offset:20992                          // 000000003A90: D81A5200 00003008
	v_sub_f32_e32 v49, v11, v15                                // 000000003A98: 04621F0B
	v_cndmask_b32_e64 v49, v49, 0, s[40:41]                    // 000000003A9C: D1000031 00A10131
	v_mov_b32_e32 v11, v15                                     // 000000003AA4: 7E16030F
	v_mul_f32_e32 v49, s64, v49                                // 000000003AA8: 0A626240
	v_exp_f32_e32 v49, v49                                     // 000000003AAC: 7E624131
	s_waitcnt lgkmcnt(0)                                       // 000000003AB0: BF8CC07F
	s_barrier                                                  // 000000003AB4: BF8A0000
	ds_read_b32 v64, v7 offset:20992                           // 000000003AB8: D86C5200 40000007
	ds_read_b32 v65, v7 offset:21056                           // 000000003AC0: D86C5240 41000007
	ds_read_b32 v66, v7 offset:21120                           // 000000003AC8: D86C5280 42000007
	ds_read_b32 v67, v7 offset:21184                           // 000000003AD0: D86C52C0 43000007
	ds_read_b32 v68, v7 offset:21248                           // 000000003AD8: D86C5300 44000007
	ds_read_b32 v69, v7 offset:21312                           // 000000003AE0: D86C5340 45000007
	ds_read_b32 v70, v7 offset:21376                           // 000000003AE8: D86C5380 46000007
	ds_read_b32 v71, v7 offset:21440                           // 000000003AF0: D86C53C0 47000007
	ds_read_b32 v72, v7 offset:21504                           // 000000003AF8: D86C5400 48000007
	ds_read_b32 v73, v7 offset:21568                           // 000000003B00: D86C5440 49000007
	ds_read_b32 v74, v7 offset:21632                           // 000000003B08: D86C5480 4A000007
	ds_read_b32 v75, v7 offset:21696                           // 000000003B10: D86C54C0 4B000007
	ds_read_b32 v76, v7 offset:21760                           // 000000003B18: D86C5500 4C000007
	ds_read_b32 v77, v7 offset:21824                           // 000000003B20: D86C5540 4D000007
	ds_read_b32 v78, v7 offset:21888                           // 000000003B28: D86C5580 4E000007
	ds_read_b32 v79, v7 offset:21952                           // 000000003B30: D86C55C0 4F000007
	v_mul_f32_e32 v38, v49, v38                                // 000000003B38: 0A4C4D31
	v_mov_b32_e32 v15, v112                                    // 000000003B3C: 7E1E0370
	v_add_f32_e32 v15, v113, v15                               // 000000003B40: 021E1F71
	v_add_f32_e32 v15, v114, v15                               // 000000003B44: 021E1F72
	v_add_f32_e32 v15, v115, v15                               // 000000003B48: 021E1F73
	v_add_f32_e32 v15, v116, v15                               // 000000003B4C: 021E1F74
	v_add_f32_e32 v15, v117, v15                               // 000000003B50: 021E1F75
	v_add_f32_e32 v15, v118, v15                               // 000000003B54: 021E1F76
	v_add_f32_e32 v15, v119, v15                               // 000000003B58: 021E1F77
	v_add_f32_e32 v15, v120, v15                               // 000000003B5C: 021E1F78
	v_add_f32_e32 v15, v121, v15                               // 000000003B60: 021E1F79
	v_add_f32_e32 v15, v122, v15                               // 000000003B64: 021E1F7A
	v_add_f32_e32 v15, v123, v15                               // 000000003B68: 021E1F7B
	v_add_f32_e32 v15, v124, v15                               // 000000003B6C: 021E1F7C
	v_add_f32_e32 v15, v125, v15                               // 000000003B70: 021E1F7D
	v_add_f32_e32 v15, v126, v15                               // 000000003B74: 021E1F7E
	v_add_f32_e32 v15, v127, v15                               // 000000003B78: 021E1F7F
	v_add_f32_e32 v38, v15, v38                                // 000000003B7C: 024C4D0F
	s_waitcnt lgkmcnt(0)                                       // 000000003B80: BF8CC07F
	v_max3_f32 v48, |v64|, |v65|, v48                          // 000000003B84: D1D30330 04C28340
	v_max3_f32 v48, |v66|, |v67|, v48                          // 000000003B8C: D1D30330 04C28742
	v_max3_f32 v48, |v68|, |v69|, v48                          // 000000003B94: D1D30330 04C28B44
	v_max3_f32 v48, |v70|, |v71|, v48                          // 000000003B9C: D1D30330 04C28F46
	v_max3_f32 v48, |v72|, |v73|, v48                          // 000000003BA4: D1D30330 04C29348
	v_max3_f32 v48, |v74|, |v75|, v48                          // 000000003BAC: D1D30330 04C2974A
	v_max3_f32 v48, |v76|, |v77|, v48                          // 000000003BB4: D1D30330 04C29B4C
	v_max3_f32 v48, |v78|, |v79|, v48                          // 000000003BBC: D1D30330 04C29F4E
	s_nop 2                                                    // 000000003BC4: BF800002
	v_rcp_f32_e32 v48, v48                                     // 000000003BC8: 7E604530
	s_nop 1                                                    // 000000003BCC: BF800001
	v_mul_f32_e32 v48, 0x42fe0000, v48                         // 000000003BD0: 0A6060FF 42FE0000
	v_mul_f32_e32 v112, v48, v240                              // 000000003BD8: 0AE1E130
	v_mul_f32_e32 v113, v48, v241                              // 000000003BDC: 0AE3E330
	v_mul_f32_e32 v114, v48, v242                              // 000000003BE0: 0AE5E530
	v_mul_f32_e32 v115, v48, v243                              // 000000003BE4: 0AE7E730
	v_mul_f32_e32 v116, v48, v244                              // 000000003BE8: 0AE9E930
	v_mul_f32_e32 v117, v48, v245                              // 000000003BEC: 0AEBEB30
	v_mul_f32_e32 v118, v48, v246                              // 000000003BF0: 0AEDED30
	v_mul_f32_e32 v119, v48, v247                              // 000000003BF4: 0AEFEF30
	v_mul_f32_e32 v120, v48, v248                              // 000000003BF8: 0AF1F130
	v_mul_f32_e32 v121, v48, v249                              // 000000003BFC: 0AF3F330
	v_mul_f32_e32 v122, v48, v250                              // 000000003C00: 0AF5F530
	v_mul_f32_e32 v123, v48, v251                              // 000000003C04: 0AF7F730
	v_mul_f32_e32 v124, v48, v252                              // 000000003C08: 0AF9F930
	v_mul_f32_e32 v125, v48, v253                              // 000000003C0C: 0AFBFB30
	v_mul_f32_e32 v126, v48, v254                              // 000000003C10: 0AFDFD30
	v_mul_f32_e32 v127, v48, v255                              // 000000003C14: 0AFFFF30
	v_cvt_i32_f32_e32 v112, v112                               // 000000003C18: 7EE01170
	v_cvt_i32_f32_e32 v113, v113                               // 000000003C1C: 7EE21171
	v_cvt_i32_f32_e32 v114, v114                               // 000000003C20: 7EE41172
	v_cvt_i32_f32_e32 v115, v115                               // 000000003C24: 7EE61173
	v_cvt_i32_f32_e32 v116, v116                               // 000000003C28: 7EE81174
	v_cvt_i32_f32_e32 v117, v117                               // 000000003C2C: 7EEA1175
	v_cvt_i32_f32_e32 v118, v118                               // 000000003C30: 7EEC1176
	v_cvt_i32_f32_e32 v119, v119                               // 000000003C34: 7EEE1177
	v_cvt_i32_f32_e32 v120, v120                               // 000000003C38: 7EF01178
	v_cvt_i32_f32_e32 v121, v121                               // 000000003C3C: 7EF21179
	v_cvt_i32_f32_e32 v122, v122                               // 000000003C40: 7EF4117A
	v_cvt_i32_f32_e32 v123, v123                               // 000000003C44: 7EF6117B
	v_cvt_i32_f32_e32 v124, v124                               // 000000003C48: 7EF8117C
	v_cvt_i32_f32_e32 v125, v125                               // 000000003C4C: 7EFA117D
	v_cvt_i32_f32_e32 v126, v126                               // 000000003C50: 7EFC117E
	v_cvt_i32_f32_e32 v127, v127                               // 000000003C54: 7EFE117F
	v_perm_b32 v112, v113, v112, s53                           // 000000003C58: D1ED0070 00D6E171
	v_perm_b32 v112, v114, v112, s54                           // 000000003C60: D1ED0070 00DAE172
	v_perm_b32 v112, v115, v112, s55                           // 000000003C68: D1ED0070 00DEE173
	v_perm_b32 v113, v117, v116, s53                           // 000000003C70: D1ED0071 00D6E975
	v_perm_b32 v113, v118, v113, s54                           // 000000003C78: D1ED0071 00DAE376
	v_perm_b32 v113, v119, v113, s55                           // 000000003C80: D1ED0071 00DEE377
	v_perm_b32 v114, v121, v120, s53                           // 000000003C88: D1ED0072 00D6F179
	v_perm_b32 v114, v122, v114, s54                           // 000000003C90: D1ED0072 00DAE57A
	v_perm_b32 v114, v123, v114, s55                           // 000000003C98: D1ED0072 00DEE57B
	v_perm_b32 v115, v125, v124, s53                           // 000000003CA0: D1ED0073 00D6F97D
	v_perm_b32 v115, v126, v115, s54                           // 000000003CA8: D1ED0073 00DAE77E
	v_perm_b32 v115, v127, v115, s55                           // 000000003CB0: D1ED0073 00DEE77F
	ds_write_b32 v10, v112 offset:25088                        // 000000003CB8: D81A6200 0000700A
	ds_write_b32 v10, v113 offset:26112                        // 000000003CC0: D81A6600 0000710A
	ds_write_b32 v10, v114 offset:27136                        // 000000003CC8: D81A6A00 0000720A
	ds_write_b32 v10, v115 offset:28160                        // 000000003CD0: D81A6E00 0000730A
	v_add_f32_e32 v208, v208, v176                             // 000000003CD8: 03A161D0
	v_add_f32_e32 v209, v209, v177                             // 000000003CDC: 03A363D1
	v_add_f32_e32 v210, v210, v178                             // 000000003CE0: 03A565D2
	v_add_f32_e32 v211, v211, v179                             // 000000003CE4: 03A767D3
	v_add_f32_e32 v212, v212, v180                             // 000000003CE8: 03A969D4
	v_add_f32_e32 v213, v213, v181                             // 000000003CEC: 03AB6BD5
	v_add_f32_e32 v214, v214, v182                             // 000000003CF0: 03AD6DD6
	v_add_f32_e32 v215, v215, v183                             // 000000003CF4: 03AF6FD7
	v_rcp_f32_e32 v44, v48                                     // 000000003CF8: 7E584530
	s_waitcnt lgkmcnt(0)                                       // 000000003CFC: BF8CC07F
	s_barrier                                                  // 000000003D00: BF8A0000
	ds_read_b64 v[112:113], v9 offset:25088                    // 000000003D04: D8EC6200 70000009
	ds_read_b64 v[114:115], v9 offset:25216                    // 000000003D0C: D8EC6280 72000009
	ds_read_b64 v[116:117], v9 offset:26112                    // 000000003D14: D8EC6600 74000009
	ds_read_b64 v[118:119], v9 offset:26240                    // 000000003D1C: D8EC6680 76000009
	ds_read_b64 v[120:121], v9 offset:27136                    // 000000003D24: D8EC6A00 78000009
	ds_read_b64 v[122:123], v9 offset:27264                    // 000000003D2C: D8EC6A80 7A000009
	ds_read_b64 v[124:125], v9 offset:28160                    // 000000003D34: D8EC6E00 7C000009
	ds_read_b64 v[126:127], v9 offset:28288                    // 000000003D3C: D8EC6E80 7E000009
	s_waitcnt vmcnt(15)                                        // 000000003D44: BF8C0F7F
	s_waitcnt lgkmcnt(7)                                       // 000000003D48: BF8CC77F
	v_mfma_i32_16x16x32_i8 v[176:179], a[96:97], v[112:113], 0 // 000000003D4C: D3D700B0 0A02E160
	s_waitcnt lgkmcnt(6)                                       // 000000003D54: BF8CC67F
	v_mfma_i32_16x16x32_i8 v[176:179], a[98:99], v[114:115], v[176:179]// 000000003D58: D3D700B0 0EC2E562
	buffer_load_dwordx4 a[80:83], v30, s[20:23], 0 offen offset:1024// 000000003D60: E05C1400 8085501E
	s_waitcnt lgkmcnt(5)                                       // 000000003D68: BF8CC57F
	v_mfma_i32_16x16x32_i8 v[176:179], a[100:101], v[116:117], v[176:179]// 000000003D6C: D3D700B0 0EC2E964
	s_waitcnt lgkmcnt(4)                                       // 000000003D74: BF8CC47F
	v_mfma_i32_16x16x32_i8 v[176:179], a[102:103], v[118:119], v[176:179]// 000000003D78: D3D700B0 0EC2ED66
	s_waitcnt lgkmcnt(3)                                       // 000000003D80: BF8CC37F
	v_mfma_i32_16x16x32_i8 v[176:179], a[104:105], v[120:121], v[176:179]// 000000003D84: D3D700B0 0EC2F168
	s_waitcnt lgkmcnt(2)                                       // 000000003D8C: BF8CC27F
	v_mfma_i32_16x16x32_i8 v[176:179], a[106:107], v[122:123], v[176:179]// 000000003D90: D3D700B0 0EC2F56A
	buffer_load_dwordx4 a[84:87], v31, s[20:23], 0 offen offset:1024// 000000003D98: E05C1400 8085541F
	s_waitcnt lgkmcnt(1)                                       // 000000003DA0: BF8CC17F
	v_mfma_i32_16x16x32_i8 v[176:179], a[108:109], v[124:125], v[176:179]// 000000003DA4: D3D700B0 0EC2F96C
	s_waitcnt lgkmcnt(0)                                       // 000000003DAC: BF8CC07F
	v_mfma_i32_16x16x32_i8 v[176:179], a[110:111], v[126:127], v[176:179]// 000000003DB0: D3D700B0 0EC2FD6E
	v_mfma_i32_16x16x32_i8 v[180:183], a[112:113], v[112:113], 0// 000000003DB8: D3D700B4 0A02E170
	v_mfma_i32_16x16x32_i8 v[180:183], a[114:115], v[114:115], v[180:183]// 000000003DC0: D3D700B4 0ED2E572
	buffer_load_dwordx4 a[88:91], v32, s[20:23], 0 offen offset:1024// 000000003DC8: E05C1400 80855820
	v_mfma_i32_16x16x32_i8 v[180:183], a[116:117], v[116:117], v[180:183]// 000000003DD0: D3D700B4 0ED2E974
	v_mfma_i32_16x16x32_i8 v[180:183], a[118:119], v[118:119], v[180:183]// 000000003DD8: D3D700B4 0ED2ED76
	v_mfma_i32_16x16x32_i8 v[180:183], a[120:121], v[120:121], v[180:183]// 000000003DE0: D3D700B4 0ED2F178
	v_mfma_i32_16x16x32_i8 v[180:183], a[122:123], v[122:123], v[180:183]// 000000003DE8: D3D700B4 0ED2F57A
	buffer_load_dwordx4 a[92:95], v33, s[20:23], 0 offen offset:1024// 000000003DF0: E05C1400 80855C21
	v_mfma_i32_16x16x32_i8 v[180:183], a[124:125], v[124:125], v[180:183]// 000000003DF8: D3D700B4 0ED2F97C
	s_lshr_b32 s57, s70, 4                                     // 000000003E00: 8F398446
	s_add_u32 s57, 48, s57                                     // 000000003E04: 803939B0
	v_mfma_i32_16x16x32_i8 v[180:183], a[126:127], v[126:127], v[180:183]// 000000003E08: D3D700B4 0ED2FD7E
	s_cmp_ge_u32 s57, s73                                      // 000000003E10: BF094939
	s_cselect_b32 s56, 0, s56                                  // 000000003E14: 85383880
	v_add_u32_e32 v1, s56, v1                                  // 000000003E18: 68020238
	s_addk_i32 s70, 0x100                                      // 000000003E1C: B7460100
	s_cmp_lt_i32 s70, s71                                      // 000000003E20: BF044746
	s_cbranch_scc0 label_070B                                  // 000000003E24: BF840001
	s_branch label_020E                                        // 000000003E28: BF82FB03

0000000000003e2c <label_070B>:
	s_nop 0                                                    // 000000003E2C: BF800000
	s_nop 0                                                    // 000000003E30: BF800000
	s_branch label_0C0B                                        // 000000003E34: BF8204FD

0000000000003e38 <label_070E>:
	s_waitcnt vmcnt(8) lgkmcnt(0)                              // 000000003E38: BF8C0078
	v_mul_u32_u24_dpp v64, v17, v54 row_newbcast:0 row_mask:0xf bank_mask:0xf// 000000003E3C: 10806CFA FF015011
	v_mul_u32_u24_dpp v65, v17, v54 row_newbcast:4 row_mask:0xf bank_mask:0xf// 000000003E44: 10826CFA FF015411
	v_mul_u32_u24_dpp v66, v17, v54 row_newbcast:8 row_mask:0xf bank_mask:0xf// 000000003E4C: 10846CFA FF015811
	v_mul_u32_u24_dpp v67, v17, v54 row_newbcast:12 row_mask:0xf bank_mask:0xf// 000000003E54: 10866CFA FF015C11
	v_add_u32_e32 v26, v64, v5                                 // 000000003E5C: 68340B40
	v_add_u32_e32 v27, v65, v5                                 // 000000003E60: 68360B41
	v_add_u32_e32 v28, v66, v5                                 // 000000003E64: 68380B42
	v_add_u32_e32 v29, v67, v5                                 // 000000003E68: 683A0B43
	v_mul_u32_u24_dpp v64, v17, v63 quad_perm:[0,0,0,0] row_mask:0xf bank_mask:0xf// 000000003E6C: 10807EFA FF000011
	v_add_u32_e32 v3, v64, v59                                 // 000000003E74: 68067740
	v_mul_u32_u24_dpp v64, v17, v63 quad_perm:[0,0,0,0] row_mask:0xf bank_mask:0xf// 000000003E78: 10807EFA FF000011
	v_add_u32_e32 v56, v64, v60                                // 000000003E80: 68707940
	v_mfma_i32_16x16x32_i8 v[112:115], a[0:1], v[80:81], 0     // 000000003E84: D3D70070 0A02A100
	buffer_load_dwordx4 a[32:35], v26, s[16:19], 0 offen       // 000000003E8C: E05C1000 8084201A
	v_mfma_i32_16x16x32_i8 v[112:115], a[2:3], v[82:83], v[112:115]// 000000003E94: D3D70070 0DC2A502
	v_mfma_i32_16x16x32_i8 v[112:115], a[4:5], v[84:85], v[112:115]// 000000003E9C: D3D70070 0DC2A904
	buffer_load_dword v16, v1, s[24:27], 0 offen               // 000000003EA4: E0501000 80061001
	v_mfma_i32_16x16x32_i8 v[112:115], a[6:7], v[86:87], v[112:115]// 000000003EAC: D3D70070 0DC2AD06
	v_mfma_i32_16x16x32_i8 v[116:119], a[8:9], v[80:81], 0     // 000000003EB4: D3D70074 0A02A108
	buffer_load_dwordx4 a[36:39], v26, s[16:19], 0 offen offset:1024// 000000003EBC: E05C1400 8084241A
	v_mfma_i32_16x16x32_i8 v[116:119], a[10:11], v[82:83], v[116:119]// 000000003EC4: D3D70074 0DD2A50A
	v_mfma_i32_16x16x32_i8 v[116:119], a[12:13], v[84:85], v[116:119]// 000000003ECC: D3D70074 0DD2A90C
	v_mfma_i32_16x16x32_i8 v[116:119], a[14:15], v[86:87], v[116:119]// 000000003ED4: D3D70074 0DD2AD0E
	v_mfma_i32_16x16x32_i8 v[120:123], a[16:17], v[80:81], 0   // 000000003EDC: D3D70078 0A02A110
	buffer_load_dwordx4 a[40:43], v27, s[16:19], 0 offen       // 000000003EE4: E05C1000 8084281B
	v_mfma_i32_16x16x32_i8 v[120:123], a[18:19], v[82:83], v[120:123]// 000000003EEC: D3D70078 0DE2A512
	v_mfma_i32_16x16x32_i8 v[120:123], a[20:21], v[84:85], v[120:123]// 000000003EF4: D3D70078 0DE2A914
	v_mfma_i32_16x16x32_i8 v[120:123], a[22:23], v[86:87], v[120:123]// 000000003EFC: D3D70078 0DE2AD16
	v_mfma_i32_16x16x32_i8 v[124:127], a[24:25], v[80:81], 0   // 000000003F04: D3D7007C 0A02A118
	buffer_load_dwordx4 a[44:47], v27, s[16:19], 0 offen offset:1024// 000000003F0C: E05C1400 80842C1B
	v_mfma_i32_16x16x32_i8 v[124:127], a[26:27], v[82:83], v[124:127]// 000000003F14: D3D7007C 0DF2A51A
	v_mfma_i32_16x16x32_i8 v[124:127], a[28:29], v[84:85], v[124:127]// 000000003F1C: D3D7007C 0DF2A91C
	v_mfma_i32_16x16x32_i8 v[124:127], a[30:31], v[86:87], v[124:127]// 000000003F24: D3D7007C 0DF2AD1E
	buffer_load_dword v43, v3, s[32:35], 0 offen               // 000000003F2C: E0501000 80082B03
	v_mov_b32_dpp v64, v42 row_shr:4 row_mask:0xf bank_mask:0xf// 000000003F34: 7E8002FA FF01142A
	v_mov_b32_dpp v65, v42 row_shl:4 row_mask:0xf bank_mask:0xf// 000000003F3C: 7E8202FA FF01042A
	v_cndmask_b32_e64 v248, v42, v64, s[44:45]                 // 000000003F44: D10000F8 00B2812A
	v_cndmask_b32_e64 v249, v65, v42, s[44:45]                 // 000000003F4C: D10000F9 00B25541
	v_mov_b32_dpp v64, v248 row_shr:8 row_mask:0xf bank_mask:0xf// 000000003F54: 7E8002FA FF0118F8
	v_mov_b32_dpp v65, v248 row_shl:8 row_mask:0xf bank_mask:0xf// 000000003F5C: 7E8202FA FF0108F8
	v_mov_b32_dpp v66, v249 row_shr:8 row_mask:0xf bank_mask:0xf// 000000003F64: 7E8402FA FF0118F9
	v_mov_b32_dpp v67, v249 row_shl:8 row_mask:0xf bank_mask:0xf// 000000003F6C: 7E8602FA FF0108F9
	v_mov_b32_e32 v68, v248                                    // 000000003F74: 7E8803F8
	v_mov_b32_e32 v69, v249                                    // 000000003F78: 7E8A03F9
	v_cndmask_b32_e64 v248, v68, v64, s[42:43]                 // 000000003F7C: D10000F8 00AA8144
	v_cndmask_b32_e64 v250, v68, v65, s[78:79]                 // 000000003F84: D10000FA 013A8344
	v_cndmask_b32_e64 v249, v69, v66, s[42:43]                 // 000000003F8C: D10000F9 00AA8545
	v_cndmask_b32_e64 v251, v69, v67, s[78:79]                 // 000000003F94: D10000FB 013A8745
	v_mov_b32_dpp v64, v57 row_shr:4 row_mask:0xf bank_mask:0xf// 000000003F9C: 7E8002FA FF011439
	v_mov_b32_dpp v65, v57 row_shl:4 row_mask:0xf bank_mask:0xf// 000000003FA4: 7E8202FA FF010439
	v_cndmask_b32_e64 v252, v57, v64, s[44:45]                 // 000000003FAC: D10000FC 00B28139
	v_cndmask_b32_e64 v253, v65, v57, s[44:45]                 // 000000003FB4: D10000FD 00B27341
	v_mov_b32_dpp v64, v252 row_shr:8 row_mask:0xf bank_mask:0xf// 000000003FBC: 7E8002FA FF0118FC
	v_mov_b32_dpp v65, v252 row_shl:8 row_mask:0xf bank_mask:0xf// 000000003FC4: 7E8202FA FF0108FC
	v_mov_b32_dpp v66, v253 row_shr:8 row_mask:0xf bank_mask:0xf// 000000003FCC: 7E8402FA FF0118FD
	v_mov_b32_dpp v67, v253 row_shl:8 row_mask:0xf bank_mask:0xf// 000000003FD4: 7E8602FA FF0108FD
	v_mov_b32_e32 v68, v252                                    // 000000003FDC: 7E8803FC
	v_mov_b32_e32 v69, v253                                    // 000000003FE0: 7E8A03FD
	v_cndmask_b32_e64 v252, v68, v64, s[42:43]                 // 000000003FE4: D10000FC 00AA8144
	v_cndmask_b32_e64 v254, v68, v65, s[78:79]                 // 000000003FEC: D10000FE 013A8344
	v_cndmask_b32_e64 v253, v69, v66, s[42:43]                 // 000000003FF4: D10000FD 00AA8545
	v_cndmask_b32_e64 v255, v69, v67, s[78:79]                 // 000000003FFC: D10000FF 013A8745
	buffer_load_dword v58, v56, s[36:39], 0 offen              // 000000004004: E0501000 80093A38
	v_cvt_f32_i32_e32 v112, v112                               // 00000000400C: 7EE00B70
	v_cvt_f32_i32_e32 v113, v113                               // 000000004010: 7EE20B71
	v_cvt_f32_i32_e32 v114, v114                               // 000000004014: 7EE40B72
	v_cvt_f32_i32_e32 v115, v115                               // 000000004018: 7EE60B73
	v_cvt_f32_i32_e32 v116, v116                               // 00000000401C: 7EE80B74
	v_cvt_f32_i32_e32 v117, v117                               // 000000004020: 7EEA0B75
	v_cvt_f32_i32_e32 v118, v118                               // 000000004024: 7EEC0B76
	v_cvt_f32_i32_e32 v119, v119                               // 000000004028: 7EEE0B77
	v_cvt_f32_i32_e32 v120, v120                               // 00000000402C: 7EF00B78
	v_cvt_f32_i32_e32 v121, v121                               // 000000004030: 7EF20B79
	v_cvt_f32_i32_e32 v122, v122                               // 000000004034: 7EF40B7A
	v_cvt_f32_i32_e32 v123, v123                               // 000000004038: 7EF60B7B
	v_cvt_f32_i32_e32 v124, v124                               // 00000000403C: 7EF80B7C
	v_cvt_f32_i32_e32 v125, v125                               // 000000004040: 7EFA0B7D
	v_cvt_f32_i32_e32 v126, v126                               // 000000004044: 7EFC0B7E
	v_cvt_f32_i32_e32 v127, v127                               // 000000004048: 7EFE0B7F
	v_mul_f32_e32 v112, v18, v112                              // 00000000404C: 0AE0E112
	v_mul_f32_e32 v113, v18, v113                              // 000000004050: 0AE2E312
	v_mul_f32_e32 v114, v18, v114                              // 000000004054: 0AE4E512
	v_mul_f32_e32 v115, v18, v115                              // 000000004058: 0AE6E712
	v_mul_f32_e32 v116, v18, v116                              // 00000000405C: 0AE8E912
	v_mul_f32_e32 v117, v18, v117                              // 000000004060: 0AEAEB12
	v_mul_f32_e32 v118, v18, v118                              // 000000004064: 0AECED12
	v_mul_f32_e32 v119, v18, v119                              // 000000004068: 0AEEEF12
	v_mul_f32_e32 v120, v18, v120                              // 00000000406C: 0AF0F112
	v_mul_f32_e32 v121, v18, v121                              // 000000004070: 0AF2F312
	v_mul_f32_e32 v122, v18, v122                              // 000000004074: 0AF4F512
	v_mul_f32_e32 v123, v18, v123                              // 000000004078: 0AF6F712
	v_mul_f32_e32 v124, v18, v124                              // 00000000407C: 0AF8F912
	v_mul_f32_e32 v125, v18, v125                              // 000000004080: 0AFAFB12
	v_mul_f32_e32 v126, v18, v126                              // 000000004084: 0AFCFD12
	v_mul_f32_e32 v127, v18, v127                              // 000000004088: 0AFEFF12
	buffer_load_dwordx4 a[48:51], v28, s[16:19], 0 offen       // 00000000408C: E05C1000 8084301C
	v_mul_f32_dpp v112, v248, v112 quad_perm:[0,0,0,0] row_mask:0xf bank_mask:0xf// 000000004094: 0AE0E0FA FF0000F8
	v_mul_f32_dpp v113, v248, v113 quad_perm:[1,1,1,1] row_mask:0xf bank_mask:0xf// 00000000409C: 0AE2E2FA FF0055F8
	v_mul_f32_dpp v114, v248, v114 quad_perm:[2,2,2,2] row_mask:0xf bank_mask:0xf// 0000000040A4: 0AE4E4FA FF00AAF8
	v_mul_f32_dpp v115, v248, v115 quad_perm:[3,3,3,3] row_mask:0xf bank_mask:0xf// 0000000040AC: 0AE6E6FA FF00FFF8
	v_mul_f32_dpp v116, v249, v116 quad_perm:[0,0,0,0] row_mask:0xf bank_mask:0xf// 0000000040B4: 0AE8E8FA FF0000F9
	v_mul_f32_dpp v117, v249, v117 quad_perm:[1,1,1,1] row_mask:0xf bank_mask:0xf// 0000000040BC: 0AEAEAFA FF0055F9
	v_mul_f32_dpp v118, v249, v118 quad_perm:[2,2,2,2] row_mask:0xf bank_mask:0xf// 0000000040C4: 0AECECFA FF00AAF9
	v_mul_f32_dpp v119, v249, v119 quad_perm:[3,3,3,3] row_mask:0xf bank_mask:0xf// 0000000040CC: 0AEEEEFA FF00FFF9
	v_mul_f32_dpp v120, v250, v120 quad_perm:[0,0,0,0] row_mask:0xf bank_mask:0xf// 0000000040D4: 0AF0F0FA FF0000FA
	v_mul_f32_dpp v121, v250, v121 quad_perm:[1,1,1,1] row_mask:0xf bank_mask:0xf// 0000000040DC: 0AF2F2FA FF0055FA
	v_mul_f32_dpp v122, v250, v122 quad_perm:[2,2,2,2] row_mask:0xf bank_mask:0xf// 0000000040E4: 0AF4F4FA FF00AAFA
	v_mul_f32_dpp v123, v250, v123 quad_perm:[3,3,3,3] row_mask:0xf bank_mask:0xf// 0000000040EC: 0AF6F6FA FF00FFFA
	v_mul_f32_dpp v124, v251, v124 quad_perm:[0,0,0,0] row_mask:0xf bank_mask:0xf// 0000000040F4: 0AF8F8FA FF0000FB
	v_mul_f32_dpp v125, v251, v125 quad_perm:[1,1,1,1] row_mask:0xf bank_mask:0xf// 0000000040FC: 0AFAFAFA FF0055FB
	v_mul_f32_dpp v126, v251, v126 quad_perm:[2,2,2,2] row_mask:0xf bank_mask:0xf// 000000004104: 0AFCFCFA FF00AAFB
	v_mul_f32_dpp v127, v251, v127 quad_perm:[3,3,3,3] row_mask:0xf bank_mask:0xf// 00000000410C: 0AFEFEFA FF00FFFB
	buffer_load_dwordx4 a[52:55], v28, s[16:19], 0 offen offset:1024// 000000004114: E05C1400 8084341C
	v_mov_b32_e32 v48, v112                                    // 00000000411C: 7E600370
	v_max3_f32 v48, v112, v113, v48                            // 000000004120: D1D30030 04C2E370
	v_max3_f32 v48, v114, v115, v48                            // 000000004128: D1D30030 04C2E772
	v_max3_f32 v48, v116, v117, v48                            // 000000004130: D1D30030 04C2EB74
	v_max3_f32 v48, v118, v119, v48                            // 000000004138: D1D30030 04C2EF76
	v_max3_f32 v48, v120, v121, v48                            // 000000004140: D1D30030 04C2F378
	v_max3_f32 v48, v122, v123, v48                            // 000000004148: D1D30030 04C2F77A
	v_max3_f32 v48, v124, v125, v48                            // 000000004150: D1D30030 04C2FB7C
	v_max3_f32 v48, v126, v127, v48                            // 000000004158: D1D30030 04C2FF7E
	ds_write_b32 v8, v48 offset:16896                          // 000000004160: D81A4200 00003008
	buffer_load_dwordx4 a[56:59], v29, s[16:19], 0 offen       // 000000004168: E05C1000 8084381D
	v_mul_u32_u24_dpp v64, v17, v54 row_newbcast:1 row_mask:0xf bank_mask:0xf// 000000004170: 10806CFA FF015111
	v_mul_u32_u24_dpp v65, v17, v54 row_newbcast:5 row_mask:0xf bank_mask:0xf// 000000004178: 10826CFA FF015511
	v_mul_u32_u24_dpp v66, v17, v54 row_newbcast:9 row_mask:0xf bank_mask:0xf// 000000004180: 10846CFA FF015911
	v_mul_u32_u24_dpp v67, v17, v54 row_newbcast:13 row_mask:0xf bank_mask:0xf// 000000004188: 10866CFA FF015D11
	v_add_u32_e32 v34, v64, v6                                 // 000000004190: 68440D40
	v_add_u32_e32 v35, v65, v6                                 // 000000004194: 68460D41
	v_add_u32_e32 v36, v66, v6                                 // 000000004198: 68480D42
	v_add_u32_e32 v37, v67, v6                                 // 00000000419C: 684A0D43
	v_mul_f32_e32 v208, v49, v208                              // 0000000041A0: 0BA1A131
	v_mul_f32_e32 v209, v49, v209                              // 0000000041A4: 0BA3A331
	v_mul_f32_e32 v210, v49, v210                              // 0000000041A8: 0BA5A531
	v_mul_f32_e32 v211, v49, v211                              // 0000000041AC: 0BA7A731
	v_mul_f32_e32 v212, v49, v212                              // 0000000041B0: 0BA9A931
	v_mul_f32_e32 v213, v49, v213                              // 0000000041B4: 0BABAB31
	v_mul_f32_e32 v214, v49, v214                              // 0000000041B8: 0BADAD31
	v_mul_f32_e32 v215, v49, v215                              // 0000000041BC: 0BAFAF31
	s_waitcnt lgkmcnt(0)                                       // 0000000041C0: BF8CC07F
	s_barrier                                                  // 0000000041C4: BF8A0000
	ds_read_b32 v64, v7 offset:16896                           // 0000000041C8: D86C4200 40000007
	ds_read_b32 v65, v7 offset:16960                           // 0000000041D0: D86C4240 41000007
	ds_read_b32 v66, v7 offset:17024                           // 0000000041D8: D86C4280 42000007
	ds_read_b32 v67, v7 offset:17088                           // 0000000041E0: D86C42C0 43000007
	ds_read_b32 v68, v7 offset:17152                           // 0000000041E8: D86C4300 44000007
	ds_read_b32 v69, v7 offset:17216                           // 0000000041F0: D86C4340 45000007
	ds_read_b32 v70, v7 offset:17280                           // 0000000041F8: D86C4380 46000007
	ds_read_b32 v71, v7 offset:17344                           // 000000004200: D86C43C0 47000007
	ds_read_b32 v72, v7 offset:17408                           // 000000004208: D86C4400 48000007
	ds_read_b32 v73, v7 offset:17472                           // 000000004210: D86C4440 49000007
	ds_read_b32 v74, v7 offset:17536                           // 000000004218: D86C4480 4A000007
	ds_read_b32 v75, v7 offset:17600                           // 000000004220: D86C44C0 4B000007
	ds_read_b32 v76, v7 offset:17664                           // 000000004228: D86C4500 4C000007
	ds_read_b32 v77, v7 offset:17728                           // 000000004230: D86C4540 4D000007
	ds_read_b32 v78, v7 offset:17792                           // 000000004238: D86C4580 4E000007
	ds_read_b32 v79, v7 offset:17856                           // 000000004240: D86C45C0 4F000007
	buffer_load_dwordx4 a[60:63], v29, s[16:19], 0 offen offset:1024// 000000004248: E05C1400 80843C1D
	v_cvt_f32_i32_e32 v176, v176                               // 000000004250: 7F600BB0
	v_cvt_f32_i32_e32 v177, v177                               // 000000004254: 7F620BB1
	v_cvt_f32_i32_e32 v178, v178                               // 000000004258: 7F640BB2
	v_cvt_f32_i32_e32 v179, v179                               // 00000000425C: 7F660BB3
	v_cvt_f32_i32_e32 v180, v180                               // 000000004260: 7F680BB4
	v_cvt_f32_i32_e32 v181, v181                               // 000000004264: 7F6A0BB5
	v_cvt_f32_i32_e32 v182, v182                               // 000000004268: 7F6C0BB6
	v_cvt_f32_i32_e32 v183, v183                               // 00000000426C: 7F6E0BB7
	v_mul_f32_e32 v176, v44, v176                              // 000000004270: 0B61612C
	v_mul_f32_e32 v177, v44, v177                              // 000000004274: 0B63632C
	v_mul_f32_e32 v178, v44, v178                              // 000000004278: 0B65652C
	v_mul_f32_e32 v179, v44, v179                              // 00000000427C: 0B67672C
	v_mul_f32_e32 v180, v44, v180                              // 000000004280: 0B69692C
	v_mul_f32_e32 v181, v44, v181                              // 000000004284: 0B6B6B2C
	v_mul_f32_e32 v182, v44, v182                              // 000000004288: 0B6D6D2C
	v_mul_f32_e32 v183, v44, v183                              // 00000000428C: 0B6F6F2C
	s_waitcnt lgkmcnt(0)                                       // 000000004290: BF8CC07F
	v_max3_f32 v48, v64, v65, v48                              // 000000004294: D1D30030 04C28340
	v_max3_f32 v48, v66, v67, v48                              // 00000000429C: D1D30030 04C28742
	v_max3_f32 v48, v68, v69, v48                              // 0000000042A4: D1D30030 04C28B44
	v_max3_f32 v48, v70, v71, v48                              // 0000000042AC: D1D30030 04C28F46
	v_max3_f32 v48, v72, v73, v48                              // 0000000042B4: D1D30030 04C29348
	v_max3_f32 v48, v74, v75, v48                              // 0000000042BC: D1D30030 04C2974A
	v_max3_f32 v48, v76, v77, v48                              // 0000000042C4: D1D30030 04C29B4C
	v_max3_f32 v48, v78, v79, v48                              // 0000000042CC: D1D30030 04C29F4E
	buffer_load_dwordx4 a[96:99], v34, s[20:23], 0 offen       // 0000000042D4: E05C1000 80856022
	v_mov_b32_e32 v64, 0xff800000                              // 0000000042DC: 7E8002FF FF800000
	v_cmp_eq_u32_e64 s[40:41], v64, v11                        // 0000000042E4: D0CA0028 00021740
	s_nop 1                                                    // 0000000042EC: BF800001
	v_max_f32_e32 v15, v48, v11                                // 0000000042F0: 161E1730
	v_mul_f32_e32 v53, s64, v15                                // 0000000042F4: 0A6A1E40
	v_fma_f32 v112, v112, s64, -v53                            // 0000000042F8: D1CB0070 84D48170
	v_fma_f32 v113, v113, s64, -v53                            // 000000004300: D1CB0071 84D48171
	v_fma_f32 v114, v114, s64, -v53                            // 000000004308: D1CB0072 84D48172
	v_fma_f32 v115, v115, s64, -v53                            // 000000004310: D1CB0073 84D48173
	v_fma_f32 v116, v116, s64, -v53                            // 000000004318: D1CB0074 84D48174
	v_fma_f32 v117, v117, s64, -v53                            // 000000004320: D1CB0075 84D48175
	v_fma_f32 v118, v118, s64, -v53                            // 000000004328: D1CB0076 84D48176
	v_fma_f32 v119, v119, s64, -v53                            // 000000004330: D1CB0077 84D48177
	v_fma_f32 v120, v120, s64, -v53                            // 000000004338: D1CB0078 84D48178
	v_fma_f32 v121, v121, s64, -v53                            // 000000004340: D1CB0079 84D48179
	v_fma_f32 v122, v122, s64, -v53                            // 000000004348: D1CB007A 84D4817A
	v_fma_f32 v123, v123, s64, -v53                            // 000000004350: D1CB007B 84D4817B
	v_fma_f32 v124, v124, s64, -v53                            // 000000004358: D1CB007C 84D4817C
	v_fma_f32 v125, v125, s64, -v53                            // 000000004360: D1CB007D 84D4817D
	v_fma_f32 v126, v126, s64, -v53                            // 000000004368: D1CB007E 84D4817E
	v_fma_f32 v127, v127, s64, -v53                            // 000000004370: D1CB007F 84D4817F
	buffer_load_dwordx4 a[100:103], v35, s[20:23], 0 offen     // 000000004378: E05C1000 80856423
	v_exp_f32_e32 v112, v112                                   // 000000004380: 7EE04170
	v_exp_f32_e32 v113, v113                                   // 000000004384: 7EE24171
	v_exp_f32_e32 v114, v114                                   // 000000004388: 7EE44172
	v_exp_f32_e32 v115, v115                                   // 00000000438C: 7EE64173
	v_exp_f32_e32 v116, v116                                   // 000000004390: 7EE84174
	v_exp_f32_e32 v117, v117                                   // 000000004394: 7EEA4175
	v_exp_f32_e32 v118, v118                                   // 000000004398: 7EEC4176
	v_exp_f32_e32 v119, v119                                   // 00000000439C: 7EEE4177
	v_exp_f32_e32 v120, v120                                   // 0000000043A0: 7EF04178
	v_exp_f32_e32 v121, v121                                   // 0000000043A4: 7EF24179
	v_exp_f32_e32 v122, v122                                   // 0000000043A8: 7EF4417A
	v_exp_f32_e32 v123, v123                                   // 0000000043AC: 7EF6417B
	v_exp_f32_e32 v124, v124                                   // 0000000043B0: 7EF8417C
	v_exp_f32_e32 v125, v125                                   // 0000000043B4: 7EFA417D
	v_exp_f32_e32 v126, v126                                   // 0000000043B8: 7EFC417E
	v_exp_f32_e32 v127, v127                                   // 0000000043BC: 7EFE417F
	buffer_load_dwordx4 a[104:107], v36, s[20:23], 0 offen     // 0000000043C0: E05C1000 80856824
	v_mul_f32_dpp v240, v252, v112 quad_perm:[0,0,0,0] row_mask:0xf bank_mask:0xf// 0000000043C8: 0BE0E0FA FF0000FC
	v_mul_f32_dpp v241, v252, v113 quad_perm:[1,1,1,1] row_mask:0xf bank_mask:0xf// 0000000043D0: 0BE2E2FA FF0055FC
	v_mul_f32_dpp v242, v252, v114 quad_perm:[2,2,2,2] row_mask:0xf bank_mask:0xf// 0000000043D8: 0BE4E4FA FF00AAFC
	v_mul_f32_dpp v243, v252, v115 quad_perm:[3,3,3,3] row_mask:0xf bank_mask:0xf// 0000000043E0: 0BE6E6FA FF00FFFC
	v_mul_f32_dpp v244, v253, v116 quad_perm:[0,0,0,0] row_mask:0xf bank_mask:0xf// 0000000043E8: 0BE8E8FA FF0000FD
	v_mul_f32_dpp v245, v253, v117 quad_perm:[1,1,1,1] row_mask:0xf bank_mask:0xf// 0000000043F0: 0BEAEAFA FF0055FD
	v_mul_f32_dpp v246, v253, v118 quad_perm:[2,2,2,2] row_mask:0xf bank_mask:0xf// 0000000043F8: 0BECECFA FF00AAFD
	v_mul_f32_dpp v247, v253, v119 quad_perm:[3,3,3,3] row_mask:0xf bank_mask:0xf// 000000004400: 0BEEEEFA FF00FFFD
	v_mul_f32_dpp v248, v254, v120 quad_perm:[0,0,0,0] row_mask:0xf bank_mask:0xf// 000000004408: 0BF0F0FA FF0000FE
	v_mul_f32_dpp v249, v254, v121 quad_perm:[1,1,1,1] row_mask:0xf bank_mask:0xf// 000000004410: 0BF2F2FA FF0055FE
	v_mul_f32_dpp v250, v254, v122 quad_perm:[2,2,2,2] row_mask:0xf bank_mask:0xf// 000000004418: 0BF4F4FA FF00AAFE
	v_mul_f32_dpp v251, v254, v123 quad_perm:[3,3,3,3] row_mask:0xf bank_mask:0xf// 000000004420: 0BF6F6FA FF00FFFE
	v_mul_f32_dpp v252, v255, v124 quad_perm:[0,0,0,0] row_mask:0xf bank_mask:0xf// 000000004428: 0BF8F8FA FF0000FF
	v_mul_f32_dpp v253, v255, v125 quad_perm:[1,1,1,1] row_mask:0xf bank_mask:0xf// 000000004430: 0BFAFAFA FF0055FF
	v_mul_f32_dpp v254, v255, v126 quad_perm:[2,2,2,2] row_mask:0xf bank_mask:0xf// 000000004438: 0BFCFCFA FF00AAFF
	v_mul_f32_dpp v255, v255, v127 quad_perm:[3,3,3,3] row_mask:0xf bank_mask:0xf// 000000004440: 0BFEFEFA FF00FFFF
	v_mov_b32_e32 v48, 0x358637bd                              // 000000004448: 7E6002FF 358637BD
	v_max3_f32 v48, |v240|, |v241|, v48                        // 000000004450: D1D30330 04C3E3F0
	v_max3_f32 v48, |v242|, |v243|, v48                        // 000000004458: D1D30330 04C3E7F2
	v_max3_f32 v48, |v244|, |v245|, v48                        // 000000004460: D1D30330 04C3EBF4
	v_max3_f32 v48, |v246|, |v247|, v48                        // 000000004468: D1D30330 04C3EFF6
	v_max3_f32 v48, |v248|, |v249|, v48                        // 000000004470: D1D30330 04C3F3F8
	v_max3_f32 v48, |v250|, |v251|, v48                        // 000000004478: D1D30330 04C3F7FA
	v_max3_f32 v48, |v252|, |v253|, v48                        // 000000004480: D1D30330 04C3FBFC
	v_max3_f32 v48, |v254|, |v255|, v48                        // 000000004488: D1D30330 04C3FFFE
	buffer_load_dwordx4 a[108:111], v37, s[20:23], 0 offen     // 000000004490: E05C1000 80856C25
	ds_write_b32 v8, v48 offset:20992                          // 000000004498: D81A5200 00003008
	v_sub_f32_e32 v49, v11, v15                                // 0000000044A0: 04621F0B
	v_cndmask_b32_e64 v49, v49, 0, s[40:41]                    // 0000000044A4: D1000031 00A10131
	v_mov_b32_e32 v11, v15                                     // 0000000044AC: 7E16030F
	v_mul_f32_e32 v49, s64, v49                                // 0000000044B0: 0A626240
	v_exp_f32_e32 v49, v49                                     // 0000000044B4: 7E624131
	s_waitcnt lgkmcnt(0)                                       // 0000000044B8: BF8CC07F
	s_barrier                                                  // 0000000044BC: BF8A0000
	ds_read_b32 v64, v7 offset:20992                           // 0000000044C0: D86C5200 40000007
	ds_read_b32 v65, v7 offset:21056                           // 0000000044C8: D86C5240 41000007
	ds_read_b32 v66, v7 offset:21120                           // 0000000044D0: D86C5280 42000007
	ds_read_b32 v67, v7 offset:21184                           // 0000000044D8: D86C52C0 43000007
	ds_read_b32 v68, v7 offset:21248                           // 0000000044E0: D86C5300 44000007
	ds_read_b32 v69, v7 offset:21312                           // 0000000044E8: D86C5340 45000007
	ds_read_b32 v70, v7 offset:21376                           // 0000000044F0: D86C5380 46000007
	ds_read_b32 v71, v7 offset:21440                           // 0000000044F8: D86C53C0 47000007
	ds_read_b32 v72, v7 offset:21504                           // 000000004500: D86C5400 48000007
	ds_read_b32 v73, v7 offset:21568                           // 000000004508: D86C5440 49000007
	ds_read_b32 v74, v7 offset:21632                           // 000000004510: D86C5480 4A000007
	ds_read_b32 v75, v7 offset:21696                           // 000000004518: D86C54C0 4B000007
	ds_read_b32 v76, v7 offset:21760                           // 000000004520: D86C5500 4C000007
	ds_read_b32 v77, v7 offset:21824                           // 000000004528: D86C5540 4D000007
	ds_read_b32 v78, v7 offset:21888                           // 000000004530: D86C5580 4E000007
	ds_read_b32 v79, v7 offset:21952                           // 000000004538: D86C55C0 4F000007
	v_mul_f32_e32 v38, v49, v38                                // 000000004540: 0A4C4D31
	v_mov_b32_e32 v15, v112                                    // 000000004544: 7E1E0370
	v_add_f32_e32 v15, v113, v15                               // 000000004548: 021E1F71
	v_add_f32_e32 v15, v114, v15                               // 00000000454C: 021E1F72
	v_add_f32_e32 v15, v115, v15                               // 000000004550: 021E1F73
	v_add_f32_e32 v15, v116, v15                               // 000000004554: 021E1F74
	v_add_f32_e32 v15, v117, v15                               // 000000004558: 021E1F75
	v_add_f32_e32 v15, v118, v15                               // 00000000455C: 021E1F76
	v_add_f32_e32 v15, v119, v15                               // 000000004560: 021E1F77
	v_add_f32_e32 v15, v120, v15                               // 000000004564: 021E1F78
	v_add_f32_e32 v15, v121, v15                               // 000000004568: 021E1F79
	v_add_f32_e32 v15, v122, v15                               // 00000000456C: 021E1F7A
	v_add_f32_e32 v15, v123, v15                               // 000000004570: 021E1F7B
	v_add_f32_e32 v15, v124, v15                               // 000000004574: 021E1F7C
	v_add_f32_e32 v15, v125, v15                               // 000000004578: 021E1F7D
	v_add_f32_e32 v15, v126, v15                               // 00000000457C: 021E1F7E
	v_add_f32_e32 v15, v127, v15                               // 000000004580: 021E1F7F
	v_add_f32_e32 v38, v15, v38                                // 000000004584: 024C4D0F
	s_waitcnt lgkmcnt(0)                                       // 000000004588: BF8CC07F
	v_max3_f32 v48, |v64|, |v65|, v48                          // 00000000458C: D1D30330 04C28340
	v_max3_f32 v48, |v66|, |v67|, v48                          // 000000004594: D1D30330 04C28742
	v_max3_f32 v48, |v68|, |v69|, v48                          // 00000000459C: D1D30330 04C28B44
	v_max3_f32 v48, |v70|, |v71|, v48                          // 0000000045A4: D1D30330 04C28F46
	v_max3_f32 v48, |v72|, |v73|, v48                          // 0000000045AC: D1D30330 04C29348
	v_max3_f32 v48, |v74|, |v75|, v48                          // 0000000045B4: D1D30330 04C2974A
	v_max3_f32 v48, |v76|, |v77|, v48                          // 0000000045BC: D1D30330 04C29B4C
	v_max3_f32 v48, |v78|, |v79|, v48                          // 0000000045C4: D1D30330 04C29F4E
	s_nop 2                                                    // 0000000045CC: BF800002
	v_rcp_f32_e32 v48, v48                                     // 0000000045D0: 7E604530
	s_nop 1                                                    // 0000000045D4: BF800001
	v_mul_f32_e32 v48, 0x42fe0000, v48                         // 0000000045D8: 0A6060FF 42FE0000
	v_mul_f32_e32 v112, v48, v240                              // 0000000045E0: 0AE1E130
	v_mul_f32_e32 v113, v48, v241                              // 0000000045E4: 0AE3E330
	v_mul_f32_e32 v114, v48, v242                              // 0000000045E8: 0AE5E530
	v_mul_f32_e32 v115, v48, v243                              // 0000000045EC: 0AE7E730
	v_mul_f32_e32 v116, v48, v244                              // 0000000045F0: 0AE9E930
	v_mul_f32_e32 v117, v48, v245                              // 0000000045F4: 0AEBEB30
	v_mul_f32_e32 v118, v48, v246                              // 0000000045F8: 0AEDED30
	v_mul_f32_e32 v119, v48, v247                              // 0000000045FC: 0AEFEF30
	v_mul_f32_e32 v120, v48, v248                              // 000000004600: 0AF1F130
	v_mul_f32_e32 v121, v48, v249                              // 000000004604: 0AF3F330
	v_mul_f32_e32 v122, v48, v250                              // 000000004608: 0AF5F530
	v_mul_f32_e32 v123, v48, v251                              // 00000000460C: 0AF7F730
	v_mul_f32_e32 v124, v48, v252                              // 000000004610: 0AF9F930
	v_mul_f32_e32 v125, v48, v253                              // 000000004614: 0AFBFB30
	v_mul_f32_e32 v126, v48, v254                              // 000000004618: 0AFDFD30
	v_mul_f32_e32 v127, v48, v255                              // 00000000461C: 0AFFFF30
	v_cvt_i32_f32_e32 v112, v112                               // 000000004620: 7EE01170
	v_cvt_i32_f32_e32 v113, v113                               // 000000004624: 7EE21171
	v_cvt_i32_f32_e32 v114, v114                               // 000000004628: 7EE41172
	v_cvt_i32_f32_e32 v115, v115                               // 00000000462C: 7EE61173
	v_cvt_i32_f32_e32 v116, v116                               // 000000004630: 7EE81174
	v_cvt_i32_f32_e32 v117, v117                               // 000000004634: 7EEA1175
	v_cvt_i32_f32_e32 v118, v118                               // 000000004638: 7EEC1176
	v_cvt_i32_f32_e32 v119, v119                               // 00000000463C: 7EEE1177
	v_cvt_i32_f32_e32 v120, v120                               // 000000004640: 7EF01178
	v_cvt_i32_f32_e32 v121, v121                               // 000000004644: 7EF21179
	v_cvt_i32_f32_e32 v122, v122                               // 000000004648: 7EF4117A
	v_cvt_i32_f32_e32 v123, v123                               // 00000000464C: 7EF6117B
	v_cvt_i32_f32_e32 v124, v124                               // 000000004650: 7EF8117C
	v_cvt_i32_f32_e32 v125, v125                               // 000000004654: 7EFA117D
	v_cvt_i32_f32_e32 v126, v126                               // 000000004658: 7EFC117E
	v_cvt_i32_f32_e32 v127, v127                               // 00000000465C: 7EFE117F
	v_perm_b32 v112, v113, v112, s53                           // 000000004660: D1ED0070 00D6E171
	v_perm_b32 v112, v114, v112, s54                           // 000000004668: D1ED0070 00DAE172
	v_perm_b32 v112, v115, v112, s55                           // 000000004670: D1ED0070 00DEE173
	v_perm_b32 v113, v117, v116, s53                           // 000000004678: D1ED0071 00D6E975
	v_perm_b32 v113, v118, v113, s54                           // 000000004680: D1ED0071 00DAE376
	v_perm_b32 v113, v119, v113, s55                           // 000000004688: D1ED0071 00DEE377
	v_perm_b32 v114, v121, v120, s53                           // 000000004690: D1ED0072 00D6F179
	v_perm_b32 v114, v122, v114, s54                           // 000000004698: D1ED0072 00DAE57A
	v_perm_b32 v114, v123, v114, s55                           // 0000000046A0: D1ED0072 00DEE57B
	v_perm_b32 v115, v125, v124, s53                           // 0000000046A8: D1ED0073 00D6F97D
	v_perm_b32 v115, v126, v115, s54                           // 0000000046B0: D1ED0073 00DAE77E
	v_perm_b32 v115, v127, v115, s55                           // 0000000046B8: D1ED0073 00DEE77F
	ds_write_b32 v10, v112 offset:25088                        // 0000000046C0: D81A6200 0000700A
	ds_write_b32 v10, v113 offset:26112                        // 0000000046C8: D81A6600 0000710A
	ds_write_b32 v10, v114 offset:27136                        // 0000000046D0: D81A6A00 0000720A
	ds_write_b32 v10, v115 offset:28160                        // 0000000046D8: D81A6E00 0000730A
	v_add_f32_e32 v208, v208, v176                             // 0000000046E0: 03A161D0
	v_add_f32_e32 v209, v209, v177                             // 0000000046E4: 03A363D1
	v_add_f32_e32 v210, v210, v178                             // 0000000046E8: 03A565D2
	v_add_f32_e32 v211, v211, v179                             // 0000000046EC: 03A767D3
	v_add_f32_e32 v212, v212, v180                             // 0000000046F0: 03A969D4
	v_add_f32_e32 v213, v213, v181                             // 0000000046F4: 03AB6BD5
	v_add_f32_e32 v214, v214, v182                             // 0000000046F8: 03AD6DD6
	v_add_f32_e32 v215, v215, v183                             // 0000000046FC: 03AF6FD7
	v_rcp_f32_e32 v44, v48                                     // 000000004700: 7E584530
	s_waitcnt lgkmcnt(0)                                       // 000000004704: BF8CC07F
	s_barrier                                                  // 000000004708: BF8A0000
	ds_read_b64 v[112:113], v9 offset:25088                    // 00000000470C: D8EC6200 70000009
	ds_read_b64 v[114:115], v9 offset:25216                    // 000000004714: D8EC6280 72000009
	ds_read_b64 v[116:117], v9 offset:26112                    // 00000000471C: D8EC6600 74000009
	ds_read_b64 v[118:119], v9 offset:26240                    // 000000004724: D8EC6680 76000009
	ds_read_b64 v[120:121], v9 offset:27136                    // 00000000472C: D8EC6A00 78000009
	ds_read_b64 v[122:123], v9 offset:27264                    // 000000004734: D8EC6A80 7A000009
	ds_read_b64 v[124:125], v9 offset:28160                    // 00000000473C: D8EC6E00 7C000009
	ds_read_b64 v[126:127], v9 offset:28288                    // 000000004744: D8EC6E80 7E000009
	s_waitcnt vmcnt(15)                                        // 00000000474C: BF8C0F7F
	s_waitcnt lgkmcnt(7)                                       // 000000004750: BF8CC77F
	v_mfma_i32_16x16x32_i8 v[176:179], a[64:65], v[112:113], 0 // 000000004754: D3D700B0 0A02E140
	buffer_load_dwordx4 a[112:115], v34, s[20:23], 0 offen offset:1024// 00000000475C: E05C1400 80857022
	s_waitcnt lgkmcnt(6)                                       // 000000004764: BF8CC67F
	v_mfma_i32_16x16x32_i8 v[176:179], a[66:67], v[114:115], v[176:179]// 000000004768: D3D700B0 0EC2E542
	s_waitcnt lgkmcnt(5)                                       // 000000004770: BF8CC57F
	v_mfma_i32_16x16x32_i8 v[176:179], a[68:69], v[116:117], v[176:179]// 000000004774: D3D700B0 0EC2E944
	s_waitcnt lgkmcnt(4)                                       // 00000000477C: BF8CC47F
	v_mfma_i32_16x16x32_i8 v[176:179], a[70:71], v[118:119], v[176:179]// 000000004780: D3D700B0 0EC2ED46
	s_waitcnt lgkmcnt(3)                                       // 000000004788: BF8CC37F
	v_mfma_i32_16x16x32_i8 v[176:179], a[72:73], v[120:121], v[176:179]// 00000000478C: D3D700B0 0EC2F148
	buffer_load_dwordx4 a[116:119], v35, s[20:23], 0 offen offset:1024// 000000004794: E05C1400 80857423
	s_waitcnt lgkmcnt(2)                                       // 00000000479C: BF8CC27F
	v_mfma_i32_16x16x32_i8 v[176:179], a[74:75], v[122:123], v[176:179]// 0000000047A0: D3D700B0 0EC2F54A
	s_waitcnt lgkmcnt(1)                                       // 0000000047A8: BF8CC17F
	v_mfma_i32_16x16x32_i8 v[176:179], a[76:77], v[124:125], v[176:179]// 0000000047AC: D3D700B0 0EC2F94C
	s_waitcnt lgkmcnt(0)                                       // 0000000047B4: BF8CC07F
	v_mfma_i32_16x16x32_i8 v[176:179], a[78:79], v[126:127], v[176:179]// 0000000047B8: D3D700B0 0EC2FD4E
	v_mfma_i32_16x16x32_i8 v[180:183], a[80:81], v[112:113], 0 // 0000000047C0: D3D700B4 0A02E150
	buffer_load_dwordx4 a[120:123], v36, s[20:23], 0 offen offset:1024// 0000000047C8: E05C1400 80857824
	v_mfma_i32_16x16x32_i8 v[180:183], a[82:83], v[114:115], v[180:183]// 0000000047D0: D3D700B4 0ED2E552
	v_mfma_i32_16x16x32_i8 v[180:183], a[84:85], v[116:117], v[180:183]// 0000000047D8: D3D700B4 0ED2E954
	v_mfma_i32_16x16x32_i8 v[180:183], a[86:87], v[118:119], v[180:183]// 0000000047E0: D3D700B4 0ED2ED56
	v_mfma_i32_16x16x32_i8 v[180:183], a[88:89], v[120:121], v[180:183]// 0000000047E8: D3D700B4 0ED2F158
	buffer_load_dwordx4 a[124:127], v37, s[20:23], 0 offen offset:1024// 0000000047F0: E05C1400 80857C25
	v_mfma_i32_16x16x32_i8 v[180:183], a[90:91], v[122:123], v[180:183]// 0000000047F8: D3D700B4 0ED2F55A
	v_mfma_i32_16x16x32_i8 v[180:183], a[92:93], v[124:125], v[180:183]// 000000004800: D3D700B4 0ED2F95C
	s_lshr_b32 s57, s70, 4                                     // 000000004808: 8F398446
	s_add_u32 s57, 48, s57                                     // 00000000480C: 803939B0
	v_mfma_i32_16x16x32_i8 v[180:183], a[94:95], v[126:127], v[180:183]// 000000004810: D3D700B4 0ED2FD5E
	s_cmp_ge_u32 s57, s73                                      // 000000004818: BF094939
	s_cselect_b32 s56, 0, s56                                  // 00000000481C: 85383880
	v_add_u32_e32 v1, s56, v1                                  // 000000004820: 68020238
	s_addk_i32 s70, 0x100                                      // 000000004824: B7460100
	s_cmp_lt_i32 s70, s71                                      // 000000004828: BF044746
	s_cbranch_scc0 label_070B                                  // 00000000482C: BF84FD7F
	s_waitcnt vmcnt(8) lgkmcnt(0)                              // 000000004830: BF8C0078
	v_mul_u32_u24_dpp v64, v16, v54 row_newbcast:0 row_mask:0xf bank_mask:0xf// 000000004834: 10806CFA FF015010
	v_mul_u32_u24_dpp v65, v16, v54 row_newbcast:4 row_mask:0xf bank_mask:0xf// 00000000483C: 10826CFA FF015410
	v_mul_u32_u24_dpp v66, v16, v54 row_newbcast:8 row_mask:0xf bank_mask:0xf// 000000004844: 10846CFA FF015810
	v_mul_u32_u24_dpp v67, v16, v54 row_newbcast:12 row_mask:0xf bank_mask:0xf// 00000000484C: 10866CFA FF015C10
	v_add_u32_e32 v22, v64, v5                                 // 000000004854: 682C0B40
	v_add_u32_e32 v23, v65, v5                                 // 000000004858: 682E0B41
	v_add_u32_e32 v24, v66, v5                                 // 00000000485C: 68300B42
	v_add_u32_e32 v25, v67, v5                                 // 000000004860: 68320B43
	v_mul_u32_u24_dpp v64, v16, v63 quad_perm:[0,0,0,0] row_mask:0xf bank_mask:0xf// 000000004864: 10807EFA FF000010
	v_add_u32_e32 v2, v64, v59                                 // 00000000486C: 68047740
	v_mul_u32_u24_dpp v64, v16, v63 quad_perm:[0,0,0,0] row_mask:0xf bank_mask:0xf// 000000004870: 10807EFA FF000010
	v_add_u32_e32 v55, v64, v60                                // 000000004878: 686E7940
	v_mfma_i32_16x16x32_i8 v[112:115], a[32:33], v[80:81], 0   // 00000000487C: D3D70070 0A02A120
	buffer_load_dwordx4 a[0:3], v22, s[16:19], 0 offen         // 000000004884: E05C1000 80840016
	v_mfma_i32_16x16x32_i8 v[112:115], a[34:35], v[82:83], v[112:115]// 00000000488C: D3D70070 0DC2A522
	v_mfma_i32_16x16x32_i8 v[112:115], a[36:37], v[84:85], v[112:115]// 000000004894: D3D70070 0DC2A924
	buffer_load_dword v17, v1, s[24:27], 0 offen               // 00000000489C: E0501000 80061101
	v_mfma_i32_16x16x32_i8 v[112:115], a[38:39], v[86:87], v[112:115]// 0000000048A4: D3D70070 0DC2AD26
	v_mfma_i32_16x16x32_i8 v[116:119], a[40:41], v[80:81], 0   // 0000000048AC: D3D70074 0A02A128
	buffer_load_dwordx4 a[4:7], v22, s[16:19], 0 offen offset:1024// 0000000048B4: E05C1400 80840416
	v_mfma_i32_16x16x32_i8 v[116:119], a[42:43], v[82:83], v[116:119]// 0000000048BC: D3D70074 0DD2A52A
	v_mfma_i32_16x16x32_i8 v[116:119], a[44:45], v[84:85], v[116:119]// 0000000048C4: D3D70074 0DD2A92C
	v_mfma_i32_16x16x32_i8 v[116:119], a[46:47], v[86:87], v[116:119]// 0000000048CC: D3D70074 0DD2AD2E
	v_mfma_i32_16x16x32_i8 v[120:123], a[48:49], v[80:81], 0   // 0000000048D4: D3D70078 0A02A130
	buffer_load_dwordx4 a[8:11], v23, s[16:19], 0 offen        // 0000000048DC: E05C1000 80840817
	v_mfma_i32_16x16x32_i8 v[120:123], a[50:51], v[82:83], v[120:123]// 0000000048E4: D3D70078 0DE2A532
	v_mfma_i32_16x16x32_i8 v[120:123], a[52:53], v[84:85], v[120:123]// 0000000048EC: D3D70078 0DE2A934
	v_mfma_i32_16x16x32_i8 v[120:123], a[54:55], v[86:87], v[120:123]// 0000000048F4: D3D70078 0DE2AD36
	v_mfma_i32_16x16x32_i8 v[124:127], a[56:57], v[80:81], 0   // 0000000048FC: D3D7007C 0A02A138
	buffer_load_dwordx4 a[12:15], v23, s[16:19], 0 offen offset:1024// 000000004904: E05C1400 80840C17
	v_mfma_i32_16x16x32_i8 v[124:127], a[58:59], v[82:83], v[124:127]// 00000000490C: D3D7007C 0DF2A53A
	v_mfma_i32_16x16x32_i8 v[124:127], a[60:61], v[84:85], v[124:127]// 000000004914: D3D7007C 0DF2A93C
	v_mfma_i32_16x16x32_i8 v[124:127], a[62:63], v[86:87], v[124:127]// 00000000491C: D3D7007C 0DF2AD3E
	buffer_load_dword v42, v2, s[32:35], 0 offen               // 000000004924: E0501000 80082A02
	v_mov_b32_dpp v64, v43 row_shr:4 row_mask:0xf bank_mask:0xf// 00000000492C: 7E8002FA FF01142B
	v_mov_b32_dpp v65, v43 row_shl:4 row_mask:0xf bank_mask:0xf// 000000004934: 7E8202FA FF01042B
	v_cndmask_b32_e64 v248, v43, v64, s[44:45]                 // 00000000493C: D10000F8 00B2812B
	v_cndmask_b32_e64 v249, v65, v43, s[44:45]                 // 000000004944: D10000F9 00B25741
	v_mov_b32_dpp v64, v248 row_shr:8 row_mask:0xf bank_mask:0xf// 00000000494C: 7E8002FA FF0118F8
	v_mov_b32_dpp v65, v248 row_shl:8 row_mask:0xf bank_mask:0xf// 000000004954: 7E8202FA FF0108F8
	v_mov_b32_dpp v66, v249 row_shr:8 row_mask:0xf bank_mask:0xf// 00000000495C: 7E8402FA FF0118F9
	v_mov_b32_dpp v67, v249 row_shl:8 row_mask:0xf bank_mask:0xf// 000000004964: 7E8602FA FF0108F9
	v_mov_b32_e32 v68, v248                                    // 00000000496C: 7E8803F8
	v_mov_b32_e32 v69, v249                                    // 000000004970: 7E8A03F9
	v_cndmask_b32_e64 v248, v68, v64, s[42:43]                 // 000000004974: D10000F8 00AA8144
	v_cndmask_b32_e64 v250, v68, v65, s[78:79]                 // 00000000497C: D10000FA 013A8344
	v_cndmask_b32_e64 v249, v69, v66, s[42:43]                 // 000000004984: D10000F9 00AA8545
	v_cndmask_b32_e64 v251, v69, v67, s[78:79]                 // 00000000498C: D10000FB 013A8745
	v_mov_b32_dpp v64, v58 row_shr:4 row_mask:0xf bank_mask:0xf// 000000004994: 7E8002FA FF01143A
	v_mov_b32_dpp v65, v58 row_shl:4 row_mask:0xf bank_mask:0xf// 00000000499C: 7E8202FA FF01043A
	v_cndmask_b32_e64 v252, v58, v64, s[44:45]                 // 0000000049A4: D10000FC 00B2813A
	v_cndmask_b32_e64 v253, v65, v58, s[44:45]                 // 0000000049AC: D10000FD 00B27541
	v_mov_b32_dpp v64, v252 row_shr:8 row_mask:0xf bank_mask:0xf// 0000000049B4: 7E8002FA FF0118FC
	v_mov_b32_dpp v65, v252 row_shl:8 row_mask:0xf bank_mask:0xf// 0000000049BC: 7E8202FA FF0108FC
	v_mov_b32_dpp v66, v253 row_shr:8 row_mask:0xf bank_mask:0xf// 0000000049C4: 7E8402FA FF0118FD
	v_mov_b32_dpp v67, v253 row_shl:8 row_mask:0xf bank_mask:0xf// 0000000049CC: 7E8602FA FF0108FD
	v_mov_b32_e32 v68, v252                                    // 0000000049D4: 7E8803FC
	v_mov_b32_e32 v69, v253                                    // 0000000049D8: 7E8A03FD
	v_cndmask_b32_e64 v252, v68, v64, s[42:43]                 // 0000000049DC: D10000FC 00AA8144
	v_cndmask_b32_e64 v254, v68, v65, s[78:79]                 // 0000000049E4: D10000FE 013A8344
	v_cndmask_b32_e64 v253, v69, v66, s[42:43]                 // 0000000049EC: D10000FD 00AA8545
	v_cndmask_b32_e64 v255, v69, v67, s[78:79]                 // 0000000049F4: D10000FF 013A8745
	buffer_load_dword v57, v55, s[36:39], 0 offen              // 0000000049FC: E0501000 80093937
	v_cvt_f32_i32_e32 v112, v112                               // 000000004A04: 7EE00B70
	v_cvt_f32_i32_e32 v113, v113                               // 000000004A08: 7EE20B71
	v_cvt_f32_i32_e32 v114, v114                               // 000000004A0C: 7EE40B72
	v_cvt_f32_i32_e32 v115, v115                               // 000000004A10: 7EE60B73
	v_cvt_f32_i32_e32 v116, v116                               // 000000004A14: 7EE80B74
	v_cvt_f32_i32_e32 v117, v117                               // 000000004A18: 7EEA0B75
	v_cvt_f32_i32_e32 v118, v118                               // 000000004A1C: 7EEC0B76
	v_cvt_f32_i32_e32 v119, v119                               // 000000004A20: 7EEE0B77
	v_cvt_f32_i32_e32 v120, v120                               // 000000004A24: 7EF00B78
	v_cvt_f32_i32_e32 v121, v121                               // 000000004A28: 7EF20B79
	v_cvt_f32_i32_e32 v122, v122                               // 000000004A2C: 7EF40B7A
	v_cvt_f32_i32_e32 v123, v123                               // 000000004A30: 7EF60B7B
	v_cvt_f32_i32_e32 v124, v124                               // 000000004A34: 7EF80B7C
	v_cvt_f32_i32_e32 v125, v125                               // 000000004A38: 7EFA0B7D
	v_cvt_f32_i32_e32 v126, v126                               // 000000004A3C: 7EFC0B7E
	v_cvt_f32_i32_e32 v127, v127                               // 000000004A40: 7EFE0B7F
	v_mul_f32_e32 v112, v18, v112                              // 000000004A44: 0AE0E112
	v_mul_f32_e32 v113, v18, v113                              // 000000004A48: 0AE2E312
	v_mul_f32_e32 v114, v18, v114                              // 000000004A4C: 0AE4E512
	v_mul_f32_e32 v115, v18, v115                              // 000000004A50: 0AE6E712
	v_mul_f32_e32 v116, v18, v116                              // 000000004A54: 0AE8E912
	v_mul_f32_e32 v117, v18, v117                              // 000000004A58: 0AEAEB12
	v_mul_f32_e32 v118, v18, v118                              // 000000004A5C: 0AECED12
	v_mul_f32_e32 v119, v18, v119                              // 000000004A60: 0AEEEF12
	v_mul_f32_e32 v120, v18, v120                              // 000000004A64: 0AF0F112
	v_mul_f32_e32 v121, v18, v121                              // 000000004A68: 0AF2F312
	v_mul_f32_e32 v122, v18, v122                              // 000000004A6C: 0AF4F512
	v_mul_f32_e32 v123, v18, v123                              // 000000004A70: 0AF6F712
	v_mul_f32_e32 v124, v18, v124                              // 000000004A74: 0AF8F912
	v_mul_f32_e32 v125, v18, v125                              // 000000004A78: 0AFAFB12
	v_mul_f32_e32 v126, v18, v126                              // 000000004A7C: 0AFCFD12
	v_mul_f32_e32 v127, v18, v127                              // 000000004A80: 0AFEFF12
	buffer_load_dwordx4 a[16:19], v24, s[16:19], 0 offen       // 000000004A84: E05C1000 80841018
	v_mul_f32_dpp v112, v248, v112 quad_perm:[0,0,0,0] row_mask:0xf bank_mask:0xf// 000000004A8C: 0AE0E0FA FF0000F8
	v_mul_f32_dpp v113, v248, v113 quad_perm:[1,1,1,1] row_mask:0xf bank_mask:0xf// 000000004A94: 0AE2E2FA FF0055F8
	v_mul_f32_dpp v114, v248, v114 quad_perm:[2,2,2,2] row_mask:0xf bank_mask:0xf// 000000004A9C: 0AE4E4FA FF00AAF8
	v_mul_f32_dpp v115, v248, v115 quad_perm:[3,3,3,3] row_mask:0xf bank_mask:0xf// 000000004AA4: 0AE6E6FA FF00FFF8
	v_mul_f32_dpp v116, v249, v116 quad_perm:[0,0,0,0] row_mask:0xf bank_mask:0xf// 000000004AAC: 0AE8E8FA FF0000F9
	v_mul_f32_dpp v117, v249, v117 quad_perm:[1,1,1,1] row_mask:0xf bank_mask:0xf// 000000004AB4: 0AEAEAFA FF0055F9
	v_mul_f32_dpp v118, v249, v118 quad_perm:[2,2,2,2] row_mask:0xf bank_mask:0xf// 000000004ABC: 0AECECFA FF00AAF9
	v_mul_f32_dpp v119, v249, v119 quad_perm:[3,3,3,3] row_mask:0xf bank_mask:0xf// 000000004AC4: 0AEEEEFA FF00FFF9
	v_mul_f32_dpp v120, v250, v120 quad_perm:[0,0,0,0] row_mask:0xf bank_mask:0xf// 000000004ACC: 0AF0F0FA FF0000FA
	v_mul_f32_dpp v121, v250, v121 quad_perm:[1,1,1,1] row_mask:0xf bank_mask:0xf// 000000004AD4: 0AF2F2FA FF0055FA
	v_mul_f32_dpp v122, v250, v122 quad_perm:[2,2,2,2] row_mask:0xf bank_mask:0xf// 000000004ADC: 0AF4F4FA FF00AAFA
	v_mul_f32_dpp v123, v250, v123 quad_perm:[3,3,3,3] row_mask:0xf bank_mask:0xf// 000000004AE4: 0AF6F6FA FF00FFFA
	v_mul_f32_dpp v124, v251, v124 quad_perm:[0,0,0,0] row_mask:0xf bank_mask:0xf// 000000004AEC: 0AF8F8FA FF0000FB
	v_mul_f32_dpp v125, v251, v125 quad_perm:[1,1,1,1] row_mask:0xf bank_mask:0xf// 000000004AF4: 0AFAFAFA FF0055FB
	v_mul_f32_dpp v126, v251, v126 quad_perm:[2,2,2,2] row_mask:0xf bank_mask:0xf// 000000004AFC: 0AFCFCFA FF00AAFB
	v_mul_f32_dpp v127, v251, v127 quad_perm:[3,3,3,3] row_mask:0xf bank_mask:0xf// 000000004B04: 0AFEFEFA FF00FFFB
	buffer_load_dwordx4 a[20:23], v24, s[16:19], 0 offen offset:1024// 000000004B0C: E05C1400 80841418
	v_mov_b32_e32 v48, v112                                    // 000000004B14: 7E600370
	v_max3_f32 v48, v112, v113, v48                            // 000000004B18: D1D30030 04C2E370
	v_max3_f32 v48, v114, v115, v48                            // 000000004B20: D1D30030 04C2E772
	v_max3_f32 v48, v116, v117, v48                            // 000000004B28: D1D30030 04C2EB74
	v_max3_f32 v48, v118, v119, v48                            // 000000004B30: D1D30030 04C2EF76
	v_max3_f32 v48, v120, v121, v48                            // 000000004B38: D1D30030 04C2F378
	v_max3_f32 v48, v122, v123, v48                            // 000000004B40: D1D30030 04C2F77A
	v_max3_f32 v48, v124, v125, v48                            // 000000004B48: D1D30030 04C2FB7C
	v_max3_f32 v48, v126, v127, v48                            // 000000004B50: D1D30030 04C2FF7E
	ds_write_b32 v8, v48 offset:16896                          // 000000004B58: D81A4200 00003008
	buffer_load_dwordx4 a[24:27], v25, s[16:19], 0 offen       // 000000004B60: E05C1000 80841819
	v_mul_u32_u24_dpp v64, v16, v54 row_newbcast:1 row_mask:0xf bank_mask:0xf// 000000004B68: 10806CFA FF015110
	v_mul_u32_u24_dpp v65, v16, v54 row_newbcast:5 row_mask:0xf bank_mask:0xf// 000000004B70: 10826CFA FF015510
	v_mul_u32_u24_dpp v66, v16, v54 row_newbcast:9 row_mask:0xf bank_mask:0xf// 000000004B78: 10846CFA FF015910
	v_mul_u32_u24_dpp v67, v16, v54 row_newbcast:13 row_mask:0xf bank_mask:0xf// 000000004B80: 10866CFA FF015D10
	v_add_u32_e32 v30, v64, v6                                 // 000000004B88: 683C0D40
	v_add_u32_e32 v31, v65, v6                                 // 000000004B8C: 683E0D41
	v_add_u32_e32 v32, v66, v6                                 // 000000004B90: 68400D42
	v_add_u32_e32 v33, v67, v6                                 // 000000004B94: 68420D43
	v_mul_f32_e32 v208, v49, v208                              // 000000004B98: 0BA1A131
	v_mul_f32_e32 v209, v49, v209                              // 000000004B9C: 0BA3A331
	v_mul_f32_e32 v210, v49, v210                              // 000000004BA0: 0BA5A531
	v_mul_f32_e32 v211, v49, v211                              // 000000004BA4: 0BA7A731
	v_mul_f32_e32 v212, v49, v212                              // 000000004BA8: 0BA9A931
	v_mul_f32_e32 v213, v49, v213                              // 000000004BAC: 0BABAB31
	v_mul_f32_e32 v214, v49, v214                              // 000000004BB0: 0BADAD31
	v_mul_f32_e32 v215, v49, v215                              // 000000004BB4: 0BAFAF31
	s_waitcnt lgkmcnt(0)                                       // 000000004BB8: BF8CC07F
	s_barrier                                                  // 000000004BBC: BF8A0000
	ds_read_b32 v64, v7 offset:16896                           // 000000004BC0: D86C4200 40000007
	ds_read_b32 v65, v7 offset:16960                           // 000000004BC8: D86C4240 41000007
	ds_read_b32 v66, v7 offset:17024                           // 000000004BD0: D86C4280 42000007
	ds_read_b32 v67, v7 offset:17088                           // 000000004BD8: D86C42C0 43000007
	ds_read_b32 v68, v7 offset:17152                           // 000000004BE0: D86C4300 44000007
	ds_read_b32 v69, v7 offset:17216                           // 000000004BE8: D86C4340 45000007
	ds_read_b32 v70, v7 offset:17280                           // 000000004BF0: D86C4380 46000007
	ds_read_b32 v71, v7 offset:17344                           // 000000004BF8: D86C43C0 47000007
	ds_read_b32 v72, v7 offset:17408                           // 000000004C00: D86C4400 48000007
	ds_read_b32 v73, v7 offset:17472                           // 000000004C08: D86C4440 49000007
	ds_read_b32 v74, v7 offset:17536                           // 000000004C10: D86C4480 4A000007
	ds_read_b32 v75, v7 offset:17600                           // 000000004C18: D86C44C0 4B000007
	ds_read_b32 v76, v7 offset:17664                           // 000000004C20: D86C4500 4C000007
	ds_read_b32 v77, v7 offset:17728                           // 000000004C28: D86C4540 4D000007
	ds_read_b32 v78, v7 offset:17792                           // 000000004C30: D86C4580 4E000007
	ds_read_b32 v79, v7 offset:17856                           // 000000004C38: D86C45C0 4F000007
	buffer_load_dwordx4 a[28:31], v25, s[16:19], 0 offen offset:1024// 000000004C40: E05C1400 80841C19
	v_cvt_f32_i32_e32 v176, v176                               // 000000004C48: 7F600BB0
	v_cvt_f32_i32_e32 v177, v177                               // 000000004C4C: 7F620BB1
	v_cvt_f32_i32_e32 v178, v178                               // 000000004C50: 7F640BB2
	v_cvt_f32_i32_e32 v179, v179                               // 000000004C54: 7F660BB3
	v_cvt_f32_i32_e32 v180, v180                               // 000000004C58: 7F680BB4
	v_cvt_f32_i32_e32 v181, v181                               // 000000004C5C: 7F6A0BB5
	v_cvt_f32_i32_e32 v182, v182                               // 000000004C60: 7F6C0BB6
	v_cvt_f32_i32_e32 v183, v183                               // 000000004C64: 7F6E0BB7
	v_mul_f32_e32 v176, v44, v176                              // 000000004C68: 0B61612C
	v_mul_f32_e32 v177, v44, v177                              // 000000004C6C: 0B63632C
	v_mul_f32_e32 v178, v44, v178                              // 000000004C70: 0B65652C
	v_mul_f32_e32 v179, v44, v179                              // 000000004C74: 0B67672C
	v_mul_f32_e32 v180, v44, v180                              // 000000004C78: 0B69692C
	v_mul_f32_e32 v181, v44, v181                              // 000000004C7C: 0B6B6B2C
	v_mul_f32_e32 v182, v44, v182                              // 000000004C80: 0B6D6D2C
	v_mul_f32_e32 v183, v44, v183                              // 000000004C84: 0B6F6F2C
	s_waitcnt lgkmcnt(0)                                       // 000000004C88: BF8CC07F
	v_max3_f32 v48, v64, v65, v48                              // 000000004C8C: D1D30030 04C28340
	v_max3_f32 v48, v66, v67, v48                              // 000000004C94: D1D30030 04C28742
	v_max3_f32 v48, v68, v69, v48                              // 000000004C9C: D1D30030 04C28B44
	v_max3_f32 v48, v70, v71, v48                              // 000000004CA4: D1D30030 04C28F46
	v_max3_f32 v48, v72, v73, v48                              // 000000004CAC: D1D30030 04C29348
	v_max3_f32 v48, v74, v75, v48                              // 000000004CB4: D1D30030 04C2974A
	v_max3_f32 v48, v76, v77, v48                              // 000000004CBC: D1D30030 04C29B4C
	v_max3_f32 v48, v78, v79, v48                              // 000000004CC4: D1D30030 04C29F4E
	buffer_load_dwordx4 a[64:67], v30, s[20:23], 0 offen       // 000000004CCC: E05C1000 8085401E
	v_mov_b32_e32 v64, 0xff800000                              // 000000004CD4: 7E8002FF FF800000
	v_cmp_eq_u32_e64 s[40:41], v64, v11                        // 000000004CDC: D0CA0028 00021740
	s_nop 1                                                    // 000000004CE4: BF800001
	v_max_f32_e32 v15, v48, v11                                // 000000004CE8: 161E1730
	v_mul_f32_e32 v53, s64, v15                                // 000000004CEC: 0A6A1E40
	v_fma_f32 v112, v112, s64, -v53                            // 000000004CF0: D1CB0070 84D48170
	v_fma_f32 v113, v113, s64, -v53                            // 000000004CF8: D1CB0071 84D48171
	v_fma_f32 v114, v114, s64, -v53                            // 000000004D00: D1CB0072 84D48172
	v_fma_f32 v115, v115, s64, -v53                            // 000000004D08: D1CB0073 84D48173
	v_fma_f32 v116, v116, s64, -v53                            // 000000004D10: D1CB0074 84D48174
	v_fma_f32 v117, v117, s64, -v53                            // 000000004D18: D1CB0075 84D48175
	v_fma_f32 v118, v118, s64, -v53                            // 000000004D20: D1CB0076 84D48176
	v_fma_f32 v119, v119, s64, -v53                            // 000000004D28: D1CB0077 84D48177
	v_fma_f32 v120, v120, s64, -v53                            // 000000004D30: D1CB0078 84D48178
	v_fma_f32 v121, v121, s64, -v53                            // 000000004D38: D1CB0079 84D48179
	v_fma_f32 v122, v122, s64, -v53                            // 000000004D40: D1CB007A 84D4817A
	v_fma_f32 v123, v123, s64, -v53                            // 000000004D48: D1CB007B 84D4817B
	v_fma_f32 v124, v124, s64, -v53                            // 000000004D50: D1CB007C 84D4817C
	v_fma_f32 v125, v125, s64, -v53                            // 000000004D58: D1CB007D 84D4817D
	v_fma_f32 v126, v126, s64, -v53                            // 000000004D60: D1CB007E 84D4817E
	v_fma_f32 v127, v127, s64, -v53                            // 000000004D68: D1CB007F 84D4817F
	buffer_load_dwordx4 a[68:71], v31, s[20:23], 0 offen       // 000000004D70: E05C1000 8085441F
	v_exp_f32_e32 v112, v112                                   // 000000004D78: 7EE04170
	v_exp_f32_e32 v113, v113                                   // 000000004D7C: 7EE24171
	v_exp_f32_e32 v114, v114                                   // 000000004D80: 7EE44172
	v_exp_f32_e32 v115, v115                                   // 000000004D84: 7EE64173
	v_exp_f32_e32 v116, v116                                   // 000000004D88: 7EE84174
	v_exp_f32_e32 v117, v117                                   // 000000004D8C: 7EEA4175
	v_exp_f32_e32 v118, v118                                   // 000000004D90: 7EEC4176
	v_exp_f32_e32 v119, v119                                   // 000000004D94: 7EEE4177
	v_exp_f32_e32 v120, v120                                   // 000000004D98: 7EF04178
	v_exp_f32_e32 v121, v121                                   // 000000004D9C: 7EF24179
	v_exp_f32_e32 v122, v122                                   // 000000004DA0: 7EF4417A
	v_exp_f32_e32 v123, v123                                   // 000000004DA4: 7EF6417B
	v_exp_f32_e32 v124, v124                                   // 000000004DA8: 7EF8417C
	v_exp_f32_e32 v125, v125                                   // 000000004DAC: 7EFA417D
	v_exp_f32_e32 v126, v126                                   // 000000004DB0: 7EFC417E
	v_exp_f32_e32 v127, v127                                   // 000000004DB4: 7EFE417F
	buffer_load_dwordx4 a[72:75], v32, s[20:23], 0 offen       // 000000004DB8: E05C1000 80854820
	v_mul_f32_dpp v240, v252, v112 quad_perm:[0,0,0,0] row_mask:0xf bank_mask:0xf// 000000004DC0: 0BE0E0FA FF0000FC
	v_mul_f32_dpp v241, v252, v113 quad_perm:[1,1,1,1] row_mask:0xf bank_mask:0xf// 000000004DC8: 0BE2E2FA FF0055FC
	v_mul_f32_dpp v242, v252, v114 quad_perm:[2,2,2,2] row_mask:0xf bank_mask:0xf// 000000004DD0: 0BE4E4FA FF00AAFC
	v_mul_f32_dpp v243, v252, v115 quad_perm:[3,3,3,3] row_mask:0xf bank_mask:0xf// 000000004DD8: 0BE6E6FA FF00FFFC
	v_mul_f32_dpp v244, v253, v116 quad_perm:[0,0,0,0] row_mask:0xf bank_mask:0xf// 000000004DE0: 0BE8E8FA FF0000FD
	v_mul_f32_dpp v245, v253, v117 quad_perm:[1,1,1,1] row_mask:0xf bank_mask:0xf// 000000004DE8: 0BEAEAFA FF0055FD
	v_mul_f32_dpp v246, v253, v118 quad_perm:[2,2,2,2] row_mask:0xf bank_mask:0xf// 000000004DF0: 0BECECFA FF00AAFD
	v_mul_f32_dpp v247, v253, v119 quad_perm:[3,3,3,3] row_mask:0xf bank_mask:0xf// 000000004DF8: 0BEEEEFA FF00FFFD
	v_mul_f32_dpp v248, v254, v120 quad_perm:[0,0,0,0] row_mask:0xf bank_mask:0xf// 000000004E00: 0BF0F0FA FF0000FE
	v_mul_f32_dpp v249, v254, v121 quad_perm:[1,1,1,1] row_mask:0xf bank_mask:0xf// 000000004E08: 0BF2F2FA FF0055FE
	v_mul_f32_dpp v250, v254, v122 quad_perm:[2,2,2,2] row_mask:0xf bank_mask:0xf// 000000004E10: 0BF4F4FA FF00AAFE
	v_mul_f32_dpp v251, v254, v123 quad_perm:[3,3,3,3] row_mask:0xf bank_mask:0xf// 000000004E18: 0BF6F6FA FF00FFFE
	v_mul_f32_dpp v252, v255, v124 quad_perm:[0,0,0,0] row_mask:0xf bank_mask:0xf// 000000004E20: 0BF8F8FA FF0000FF
	v_mul_f32_dpp v253, v255, v125 quad_perm:[1,1,1,1] row_mask:0xf bank_mask:0xf// 000000004E28: 0BFAFAFA FF0055FF
	v_mul_f32_dpp v254, v255, v126 quad_perm:[2,2,2,2] row_mask:0xf bank_mask:0xf// 000000004E30: 0BFCFCFA FF00AAFF
	v_mul_f32_dpp v255, v255, v127 quad_perm:[3,3,3,3] row_mask:0xf bank_mask:0xf// 000000004E38: 0BFEFEFA FF00FFFF
	v_mov_b32_e32 v48, 0x358637bd                              // 000000004E40: 7E6002FF 358637BD
	v_max3_f32 v48, |v240|, |v241|, v48                        // 000000004E48: D1D30330 04C3E3F0
	v_max3_f32 v48, |v242|, |v243|, v48                        // 000000004E50: D1D30330 04C3E7F2
	v_max3_f32 v48, |v244|, |v245|, v48                        // 000000004E58: D1D30330 04C3EBF4
	v_max3_f32 v48, |v246|, |v247|, v48                        // 000000004E60: D1D30330 04C3EFF6
	v_max3_f32 v48, |v248|, |v249|, v48                        // 000000004E68: D1D30330 04C3F3F8
	v_max3_f32 v48, |v250|, |v251|, v48                        // 000000004E70: D1D30330 04C3F7FA
	v_max3_f32 v48, |v252|, |v253|, v48                        // 000000004E78: D1D30330 04C3FBFC
	v_max3_f32 v48, |v254|, |v255|, v48                        // 000000004E80: D1D30330 04C3FFFE
	buffer_load_dwordx4 a[76:79], v33, s[20:23], 0 offen       // 000000004E88: E05C1000 80854C21
	ds_write_b32 v8, v48 offset:20992                          // 000000004E90: D81A5200 00003008
	v_sub_f32_e32 v49, v11, v15                                // 000000004E98: 04621F0B
	v_cndmask_b32_e64 v49, v49, 0, s[40:41]                    // 000000004E9C: D1000031 00A10131
	v_mov_b32_e32 v11, v15                                     // 000000004EA4: 7E16030F
	v_mul_f32_e32 v49, s64, v49                                // 000000004EA8: 0A626240
	v_exp_f32_e32 v49, v49                                     // 000000004EAC: 7E624131
	s_waitcnt lgkmcnt(0)                                       // 000000004EB0: BF8CC07F
	s_barrier                                                  // 000000004EB4: BF8A0000
	ds_read_b32 v64, v7 offset:20992                           // 000000004EB8: D86C5200 40000007
	ds_read_b32 v65, v7 offset:21056                           // 000000004EC0: D86C5240 41000007
	ds_read_b32 v66, v7 offset:21120                           // 000000004EC8: D86C5280 42000007
	ds_read_b32 v67, v7 offset:21184                           // 000000004ED0: D86C52C0 43000007
	ds_read_b32 v68, v7 offset:21248                           // 000000004ED8: D86C5300 44000007
	ds_read_b32 v69, v7 offset:21312                           // 000000004EE0: D86C5340 45000007
	ds_read_b32 v70, v7 offset:21376                           // 000000004EE8: D86C5380 46000007
	ds_read_b32 v71, v7 offset:21440                           // 000000004EF0: D86C53C0 47000007
	ds_read_b32 v72, v7 offset:21504                           // 000000004EF8: D86C5400 48000007
	ds_read_b32 v73, v7 offset:21568                           // 000000004F00: D86C5440 49000007
	ds_read_b32 v74, v7 offset:21632                           // 000000004F08: D86C5480 4A000007
	ds_read_b32 v75, v7 offset:21696                           // 000000004F10: D86C54C0 4B000007
	ds_read_b32 v76, v7 offset:21760                           // 000000004F18: D86C5500 4C000007
	ds_read_b32 v77, v7 offset:21824                           // 000000004F20: D86C5540 4D000007
	ds_read_b32 v78, v7 offset:21888                           // 000000004F28: D86C5580 4E000007
	ds_read_b32 v79, v7 offset:21952                           // 000000004F30: D86C55C0 4F000007
	v_mul_f32_e32 v38, v49, v38                                // 000000004F38: 0A4C4D31
	v_mov_b32_e32 v15, v112                                    // 000000004F3C: 7E1E0370
	v_add_f32_e32 v15, v113, v15                               // 000000004F40: 021E1F71
	v_add_f32_e32 v15, v114, v15                               // 000000004F44: 021E1F72
	v_add_f32_e32 v15, v115, v15                               // 000000004F48: 021E1F73
	v_add_f32_e32 v15, v116, v15                               // 000000004F4C: 021E1F74
	v_add_f32_e32 v15, v117, v15                               // 000000004F50: 021E1F75
	v_add_f32_e32 v15, v118, v15                               // 000000004F54: 021E1F76
	v_add_f32_e32 v15, v119, v15                               // 000000004F58: 021E1F77
	v_add_f32_e32 v15, v120, v15                               // 000000004F5C: 021E1F78
	v_add_f32_e32 v15, v121, v15                               // 000000004F60: 021E1F79
	v_add_f32_e32 v15, v122, v15                               // 000000004F64: 021E1F7A
	v_add_f32_e32 v15, v123, v15                               // 000000004F68: 021E1F7B
	v_add_f32_e32 v15, v124, v15                               // 000000004F6C: 021E1F7C
	v_add_f32_e32 v15, v125, v15                               // 000000004F70: 021E1F7D
	v_add_f32_e32 v15, v126, v15                               // 000000004F74: 021E1F7E
	v_add_f32_e32 v15, v127, v15                               // 000000004F78: 021E1F7F
	v_add_f32_e32 v38, v15, v38                                // 000000004F7C: 024C4D0F
	s_waitcnt lgkmcnt(0)                                       // 000000004F80: BF8CC07F
	v_max3_f32 v48, |v64|, |v65|, v48                          // 000000004F84: D1D30330 04C28340
	v_max3_f32 v48, |v66|, |v67|, v48                          // 000000004F8C: D1D30330 04C28742
	v_max3_f32 v48, |v68|, |v69|, v48                          // 000000004F94: D1D30330 04C28B44
	v_max3_f32 v48, |v70|, |v71|, v48                          // 000000004F9C: D1D30330 04C28F46
	v_max3_f32 v48, |v72|, |v73|, v48                          // 000000004FA4: D1D30330 04C29348
	v_max3_f32 v48, |v74|, |v75|, v48                          // 000000004FAC: D1D30330 04C2974A
	v_max3_f32 v48, |v76|, |v77|, v48                          // 000000004FB4: D1D30330 04C29B4C
	v_max3_f32 v48, |v78|, |v79|, v48                          // 000000004FBC: D1D30330 04C29F4E
	s_nop 2                                                    // 000000004FC4: BF800002
	v_rcp_f32_e32 v48, v48                                     // 000000004FC8: 7E604530
	s_nop 1                                                    // 000000004FCC: BF800001
	v_mul_f32_e32 v48, 0x42fe0000, v48                         // 000000004FD0: 0A6060FF 42FE0000
	v_mul_f32_e32 v112, v48, v240                              // 000000004FD8: 0AE1E130
	v_mul_f32_e32 v113, v48, v241                              // 000000004FDC: 0AE3E330
	v_mul_f32_e32 v114, v48, v242                              // 000000004FE0: 0AE5E530
	v_mul_f32_e32 v115, v48, v243                              // 000000004FE4: 0AE7E730
	v_mul_f32_e32 v116, v48, v244                              // 000000004FE8: 0AE9E930
	v_mul_f32_e32 v117, v48, v245                              // 000000004FEC: 0AEBEB30
	v_mul_f32_e32 v118, v48, v246                              // 000000004FF0: 0AEDED30
	v_mul_f32_e32 v119, v48, v247                              // 000000004FF4: 0AEFEF30
	v_mul_f32_e32 v120, v48, v248                              // 000000004FF8: 0AF1F130
	v_mul_f32_e32 v121, v48, v249                              // 000000004FFC: 0AF3F330
	v_mul_f32_e32 v122, v48, v250                              // 000000005000: 0AF5F530
	v_mul_f32_e32 v123, v48, v251                              // 000000005004: 0AF7F730
	v_mul_f32_e32 v124, v48, v252                              // 000000005008: 0AF9F930
	v_mul_f32_e32 v125, v48, v253                              // 00000000500C: 0AFBFB30
	v_mul_f32_e32 v126, v48, v254                              // 000000005010: 0AFDFD30
	v_mul_f32_e32 v127, v48, v255                              // 000000005014: 0AFFFF30
	v_cvt_i32_f32_e32 v112, v112                               // 000000005018: 7EE01170
	v_cvt_i32_f32_e32 v113, v113                               // 00000000501C: 7EE21171
	v_cvt_i32_f32_e32 v114, v114                               // 000000005020: 7EE41172
	v_cvt_i32_f32_e32 v115, v115                               // 000000005024: 7EE61173
	v_cvt_i32_f32_e32 v116, v116                               // 000000005028: 7EE81174
	v_cvt_i32_f32_e32 v117, v117                               // 00000000502C: 7EEA1175
	v_cvt_i32_f32_e32 v118, v118                               // 000000005030: 7EEC1176
	v_cvt_i32_f32_e32 v119, v119                               // 000000005034: 7EEE1177
	v_cvt_i32_f32_e32 v120, v120                               // 000000005038: 7EF01178
	v_cvt_i32_f32_e32 v121, v121                               // 00000000503C: 7EF21179
	v_cvt_i32_f32_e32 v122, v122                               // 000000005040: 7EF4117A
	v_cvt_i32_f32_e32 v123, v123                               // 000000005044: 7EF6117B
	v_cvt_i32_f32_e32 v124, v124                               // 000000005048: 7EF8117C
	v_cvt_i32_f32_e32 v125, v125                               // 00000000504C: 7EFA117D
	v_cvt_i32_f32_e32 v126, v126                               // 000000005050: 7EFC117E
	v_cvt_i32_f32_e32 v127, v127                               // 000000005054: 7EFE117F
	v_perm_b32 v112, v113, v112, s53                           // 000000005058: D1ED0070 00D6E171
	v_perm_b32 v112, v114, v112, s54                           // 000000005060: D1ED0070 00DAE172
	v_perm_b32 v112, v115, v112, s55                           // 000000005068: D1ED0070 00DEE173
	v_perm_b32 v113, v117, v116, s53                           // 000000005070: D1ED0071 00D6E975
	v_perm_b32 v113, v118, v113, s54                           // 000000005078: D1ED0071 00DAE376
	v_perm_b32 v113, v119, v113, s55                           // 000000005080: D1ED0071 00DEE377
	v_perm_b32 v114, v121, v120, s53                           // 000000005088: D1ED0072 00D6F179
	v_perm_b32 v114, v122, v114, s54                           // 000000005090: D1ED0072 00DAE57A
	v_perm_b32 v114, v123, v114, s55                           // 000000005098: D1ED0072 00DEE57B
	v_perm_b32 v115, v125, v124, s53                           // 0000000050A0: D1ED0073 00D6F97D
	v_perm_b32 v115, v126, v115, s54                           // 0000000050A8: D1ED0073 00DAE77E
	v_perm_b32 v115, v127, v115, s55                           // 0000000050B0: D1ED0073 00DEE77F
	ds_write_b32 v10, v112 offset:25088                        // 0000000050B8: D81A6200 0000700A
	ds_write_b32 v10, v113 offset:26112                        // 0000000050C0: D81A6600 0000710A
	ds_write_b32 v10, v114 offset:27136                        // 0000000050C8: D81A6A00 0000720A
	ds_write_b32 v10, v115 offset:28160                        // 0000000050D0: D81A6E00 0000730A
	v_add_f32_e32 v208, v208, v176                             // 0000000050D8: 03A161D0
	v_add_f32_e32 v209, v209, v177                             // 0000000050DC: 03A363D1
	v_add_f32_e32 v210, v210, v178                             // 0000000050E0: 03A565D2
	v_add_f32_e32 v211, v211, v179                             // 0000000050E4: 03A767D3
	v_add_f32_e32 v212, v212, v180                             // 0000000050E8: 03A969D4
	v_add_f32_e32 v213, v213, v181                             // 0000000050EC: 03AB6BD5
	v_add_f32_e32 v214, v214, v182                             // 0000000050F0: 03AD6DD6
	v_add_f32_e32 v215, v215, v183                             // 0000000050F4: 03AF6FD7
	v_rcp_f32_e32 v44, v48                                     // 0000000050F8: 7E584530
	s_waitcnt lgkmcnt(0)                                       // 0000000050FC: BF8CC07F
	s_barrier                                                  // 000000005100: BF8A0000
	ds_read_b64 v[112:113], v9 offset:25088                    // 000000005104: D8EC6200 70000009
	ds_read_b64 v[114:115], v9 offset:25216                    // 00000000510C: D8EC6280 72000009
	ds_read_b64 v[116:117], v9 offset:26112                    // 000000005114: D8EC6600 74000009
	ds_read_b64 v[118:119], v9 offset:26240                    // 00000000511C: D8EC6680 76000009
	ds_read_b64 v[120:121], v9 offset:27136                    // 000000005124: D8EC6A00 78000009
	ds_read_b64 v[122:123], v9 offset:27264                    // 00000000512C: D8EC6A80 7A000009
	ds_read_b64 v[124:125], v9 offset:28160                    // 000000005134: D8EC6E00 7C000009
	ds_read_b64 v[126:127], v9 offset:28288                    // 00000000513C: D8EC6E80 7E000009
	s_waitcnt vmcnt(15)                                        // 000000005144: BF8C0F7F
	s_waitcnt lgkmcnt(7)                                       // 000000005148: BF8CC77F
	v_mfma_i32_16x16x32_i8 v[176:179], a[96:97], v[112:113], 0 // 00000000514C: D3D700B0 0A02E160
	buffer_load_dwordx4 a[80:83], v30, s[20:23], 0 offen offset:1024// 000000005154: E05C1400 8085501E
	s_waitcnt lgkmcnt(6)                                       // 00000000515C: BF8CC67F
	v_mfma_i32_16x16x32_i8 v[176:179], a[98:99], v[114:115], v[176:179]// 000000005160: D3D700B0 0EC2E562
	s_waitcnt lgkmcnt(5)                                       // 000000005168: BF8CC57F
	v_mfma_i32_16x16x32_i8 v[176:179], a[100:101], v[116:117], v[176:179]// 00000000516C: D3D700B0 0EC2E964
	s_waitcnt lgkmcnt(4)                                       // 000000005174: BF8CC47F
	v_mfma_i32_16x16x32_i8 v[176:179], a[102:103], v[118:119], v[176:179]// 000000005178: D3D700B0 0EC2ED66
	s_waitcnt lgkmcnt(3)                                       // 000000005180: BF8CC37F
	v_mfma_i32_16x16x32_i8 v[176:179], a[104:105], v[120:121], v[176:179]// 000000005184: D3D700B0 0EC2F168
	buffer_load_dwordx4 a[84:87], v31, s[20:23], 0 offen offset:1024// 00000000518C: E05C1400 8085541F
	s_waitcnt lgkmcnt(2)                                       // 000000005194: BF8CC27F
	v_mfma_i32_16x16x32_i8 v[176:179], a[106:107], v[122:123], v[176:179]// 000000005198: D3D700B0 0EC2F56A
	s_waitcnt lgkmcnt(1)                                       // 0000000051A0: BF8CC17F
	v_mfma_i32_16x16x32_i8 v[176:179], a[108:109], v[124:125], v[176:179]// 0000000051A4: D3D700B0 0EC2F96C
	s_waitcnt lgkmcnt(0)                                       // 0000000051AC: BF8CC07F
	v_mfma_i32_16x16x32_i8 v[176:179], a[110:111], v[126:127], v[176:179]// 0000000051B0: D3D700B0 0EC2FD6E
	v_mfma_i32_16x16x32_i8 v[180:183], a[112:113], v[112:113], 0// 0000000051B8: D3D700B4 0A02E170
	buffer_load_dwordx4 a[88:91], v32, s[20:23], 0 offen offset:1024// 0000000051C0: E05C1400 80855820
	v_mfma_i32_16x16x32_i8 v[180:183], a[114:115], v[114:115], v[180:183]// 0000000051C8: D3D700B4 0ED2E572
	v_mfma_i32_16x16x32_i8 v[180:183], a[116:117], v[116:117], v[180:183]// 0000000051D0: D3D700B4 0ED2E974
	v_mfma_i32_16x16x32_i8 v[180:183], a[118:119], v[118:119], v[180:183]// 0000000051D8: D3D700B4 0ED2ED76
	v_mfma_i32_16x16x32_i8 v[180:183], a[120:121], v[120:121], v[180:183]// 0000000051E0: D3D700B4 0ED2F178
	buffer_load_dwordx4 a[92:95], v33, s[20:23], 0 offen offset:1024// 0000000051E8: E05C1400 80855C21
	v_mfma_i32_16x16x32_i8 v[180:183], a[122:123], v[122:123], v[180:183]// 0000000051F0: D3D700B4 0ED2F57A
	v_mfma_i32_16x16x32_i8 v[180:183], a[124:125], v[124:125], v[180:183]// 0000000051F8: D3D700B4 0ED2F97C
	s_lshr_b32 s57, s70, 4                                     // 000000005200: 8F398446
	s_add_u32 s57, 48, s57                                     // 000000005204: 803939B0
	v_mfma_i32_16x16x32_i8 v[180:183], a[126:127], v[126:127], v[180:183]// 000000005208: D3D700B4 0ED2FD7E
	s_cmp_ge_u32 s57, s73                                      // 000000005210: BF094939
	s_cselect_b32 s56, 0, s56                                  // 000000005214: 85383880
	v_add_u32_e32 v1, s56, v1                                  // 000000005218: 68020238
	s_addk_i32 s70, 0x100                                      // 00000000521C: B7460100
	s_cmp_lt_i32 s70, s71                                      // 000000005220: BF044746
	s_cbranch_scc0 label_070B                                  // 000000005224: BF84FB01
	s_branch label_070E                                        // 000000005228: BF82FB03

000000000000522c <label_0C0B>:
	s_lshr_b32 s60, s71, 4                                     // 00000000522C: 8F3C8447
	s_cmp_eq_i32 s60, s73                                      // 000000005230: BF00493C
	s_cbranch_scc1 label_116E                                  // 000000005234: BF850560
	s_lshr_b32 s60, s71, 8                                     // 000000005238: 8F3C8847
	s_and_b32 s60, s60, 1                                      // 00000000523C: 863C813C
	s_cmp_eq_i32 s60, 1                                        // 000000005240: BF00813C
	s_cbranch_scc1 label_0EC0                                  // 000000005244: BF8502AE
	s_waitcnt vmcnt(8) lgkmcnt(0)                              // 000000005248: BF8C0078
	s_barrier                                                  // 00000000524C: BF8A0000
	v_mfma_i32_16x16x32_i8 v[112:115], a[0:1], v[80:81], 0     // 000000005250: D3D70070 0A02A100
	v_mfma_i32_16x16x32_i8 v[112:115], a[2:3], v[82:83], v[112:115]// 000000005258: D3D70070 0DC2A502
	v_mfma_i32_16x16x32_i8 v[112:115], a[4:5], v[84:85], v[112:115]// 000000005260: D3D70070 0DC2A904
	v_mfma_i32_16x16x32_i8 v[112:115], a[6:7], v[86:87], v[112:115]// 000000005268: D3D70070 0DC2AD06
	v_mfma_i32_16x16x32_i8 v[116:119], a[8:9], v[80:81], 0     // 000000005270: D3D70074 0A02A108
	v_mfma_i32_16x16x32_i8 v[116:119], a[10:11], v[82:83], v[116:119]// 000000005278: D3D70074 0DD2A50A
	v_mfma_i32_16x16x32_i8 v[116:119], a[12:13], v[84:85], v[116:119]// 000000005280: D3D70074 0DD2A90C
	v_mfma_i32_16x16x32_i8 v[116:119], a[14:15], v[86:87], v[116:119]// 000000005288: D3D70074 0DD2AD0E
	v_mfma_i32_16x16x32_i8 v[120:123], a[16:17], v[80:81], 0   // 000000005290: D3D70078 0A02A110
	v_mfma_i32_16x16x32_i8 v[120:123], a[18:19], v[82:83], v[120:123]// 000000005298: D3D70078 0DE2A512
	v_mfma_i32_16x16x32_i8 v[120:123], a[20:21], v[84:85], v[120:123]// 0000000052A0: D3D70078 0DE2A914
	v_mfma_i32_16x16x32_i8 v[120:123], a[22:23], v[86:87], v[120:123]// 0000000052A8: D3D70078 0DE2AD16
	v_mfma_i32_16x16x32_i8 v[124:127], a[24:25], v[80:81], 0   // 0000000052B0: D3D7007C 0A02A118
	v_mfma_i32_16x16x32_i8 v[124:127], a[26:27], v[82:83], v[124:127]// 0000000052B8: D3D7007C 0DF2A51A
	v_mfma_i32_16x16x32_i8 v[124:127], a[28:29], v[84:85], v[124:127]// 0000000052C0: D3D7007C 0DF2A91C
	v_mfma_i32_16x16x32_i8 v[124:127], a[30:31], v[86:87], v[124:127]// 0000000052C8: D3D7007C 0DF2AD1E
	v_mov_b32_dpp v64, v42 row_shr:4 row_mask:0xf bank_mask:0xf// 0000000052D0: 7E8002FA FF01142A
	v_mov_b32_dpp v65, v42 row_shl:4 row_mask:0xf bank_mask:0xf// 0000000052D8: 7E8202FA FF01042A
	v_cndmask_b32_e64 v248, v42, v64, s[44:45]                 // 0000000052E0: D10000F8 00B2812A
	v_cndmask_b32_e64 v249, v65, v42, s[44:45]                 // 0000000052E8: D10000F9 00B25541
	v_mov_b32_dpp v64, v248 row_shr:8 row_mask:0xf bank_mask:0xf// 0000000052F0: 7E8002FA FF0118F8
	v_mov_b32_dpp v65, v248 row_shl:8 row_mask:0xf bank_mask:0xf// 0000000052F8: 7E8202FA FF0108F8
	v_mov_b32_dpp v66, v249 row_shr:8 row_mask:0xf bank_mask:0xf// 000000005300: 7E8402FA FF0118F9
	v_mov_b32_dpp v67, v249 row_shl:8 row_mask:0xf bank_mask:0xf// 000000005308: 7E8602FA FF0108F9
	v_mov_b32_e32 v68, v248                                    // 000000005310: 7E8803F8
	v_mov_b32_e32 v69, v249                                    // 000000005314: 7E8A03F9
	v_cndmask_b32_e64 v248, v68, v64, s[42:43]                 // 000000005318: D10000F8 00AA8144
	v_cndmask_b32_e64 v250, v68, v65, s[78:79]                 // 000000005320: D10000FA 013A8344
	v_cndmask_b32_e64 v249, v69, v66, s[42:43]                 // 000000005328: D10000F9 00AA8545
	v_cndmask_b32_e64 v251, v69, v67, s[78:79]                 // 000000005330: D10000FB 013A8745
	v_mov_b32_dpp v64, v57 row_shr:4 row_mask:0xf bank_mask:0xf// 000000005338: 7E8002FA FF011439
	v_mov_b32_dpp v65, v57 row_shl:4 row_mask:0xf bank_mask:0xf// 000000005340: 7E8202FA FF010439
	v_cndmask_b32_e64 v252, v57, v64, s[44:45]                 // 000000005348: D10000FC 00B28139
	v_cndmask_b32_e64 v253, v65, v57, s[44:45]                 // 000000005350: D10000FD 00B27341
	v_mov_b32_dpp v64, v252 row_shr:8 row_mask:0xf bank_mask:0xf// 000000005358: 7E8002FA FF0118FC
	v_mov_b32_dpp v65, v252 row_shl:8 row_mask:0xf bank_mask:0xf// 000000005360: 7E8202FA FF0108FC
	v_mov_b32_dpp v66, v253 row_shr:8 row_mask:0xf bank_mask:0xf// 000000005368: 7E8402FA FF0118FD
	v_mov_b32_dpp v67, v253 row_shl:8 row_mask:0xf bank_mask:0xf// 000000005370: 7E8602FA FF0108FD
	v_mov_b32_e32 v68, v252                                    // 000000005378: 7E8803FC
	v_mov_b32_e32 v69, v253                                    // 00000000537C: 7E8A03FD
	v_cndmask_b32_e64 v252, v68, v64, s[42:43]                 // 000000005380: D10000FC 00AA8144
	v_cndmask_b32_e64 v254, v68, v65, s[78:79]                 // 000000005388: D10000FE 013A8344
	v_cndmask_b32_e64 v253, v69, v66, s[42:43]                 // 000000005390: D10000FD 00AA8545
	v_cndmask_b32_e64 v255, v69, v67, s[78:79]                 // 000000005398: D10000FF 013A8745
	v_cvt_f32_i32_e32 v112, v112                               // 0000000053A0: 7EE00B70
	v_cvt_f32_i32_e32 v113, v113                               // 0000000053A4: 7EE20B71
	v_cvt_f32_i32_e32 v114, v114                               // 0000000053A8: 7EE40B72
	v_cvt_f32_i32_e32 v115, v115                               // 0000000053AC: 7EE60B73
	v_cvt_f32_i32_e32 v116, v116                               // 0000000053B0: 7EE80B74
	v_cvt_f32_i32_e32 v117, v117                               // 0000000053B4: 7EEA0B75
	v_cvt_f32_i32_e32 v118, v118                               // 0000000053B8: 7EEC0B76
	v_cvt_f32_i32_e32 v119, v119                               // 0000000053BC: 7EEE0B77
	v_cvt_f32_i32_e32 v120, v120                               // 0000000053C0: 7EF00B78
	v_cvt_f32_i32_e32 v121, v121                               // 0000000053C4: 7EF20B79
	v_cvt_f32_i32_e32 v122, v122                               // 0000000053C8: 7EF40B7A
	v_cvt_f32_i32_e32 v123, v123                               // 0000000053CC: 7EF60B7B
	v_cvt_f32_i32_e32 v124, v124                               // 0000000053D0: 7EF80B7C
	v_cvt_f32_i32_e32 v125, v125                               // 0000000053D4: 7EFA0B7D
	v_cvt_f32_i32_e32 v126, v126                               // 0000000053D8: 7EFC0B7E
	v_cvt_f32_i32_e32 v127, v127                               // 0000000053DC: 7EFE0B7F
	v_mul_f32_e32 v112, v18, v112                              // 0000000053E0: 0AE0E112
	v_mul_f32_e32 v113, v18, v113                              // 0000000053E4: 0AE2E312
	v_mul_f32_e32 v114, v18, v114                              // 0000000053E8: 0AE4E512
	v_mul_f32_e32 v115, v18, v115                              // 0000000053EC: 0AE6E712
	v_mul_f32_e32 v116, v18, v116                              // 0000000053F0: 0AE8E912
	v_mul_f32_e32 v117, v18, v117                              // 0000000053F4: 0AEAEB12
	v_mul_f32_e32 v118, v18, v118                              // 0000000053F8: 0AECED12
	v_mul_f32_e32 v119, v18, v119                              // 0000000053FC: 0AEEEF12
	v_mul_f32_e32 v120, v18, v120                              // 000000005400: 0AF0F112
	v_mul_f32_e32 v121, v18, v121                              // 000000005404: 0AF2F312
	v_mul_f32_e32 v122, v18, v122                              // 000000005408: 0AF4F512
	v_mul_f32_e32 v123, v18, v123                              // 00000000540C: 0AF6F712
	v_mul_f32_e32 v124, v18, v124                              // 000000005410: 0AF8F912
	v_mul_f32_e32 v125, v18, v125                              // 000000005414: 0AFAFB12
	v_mul_f32_e32 v126, v18, v126                              // 000000005418: 0AFCFD12
	v_mul_f32_e32 v127, v18, v127                              // 00000000541C: 0AFEFF12
	v_mul_f32_dpp v112, v248, v112 quad_perm:[0,0,0,0] row_mask:0xf bank_mask:0xf// 000000005420: 0AE0E0FA FF0000F8
	v_mul_f32_dpp v113, v248, v113 quad_perm:[1,1,1,1] row_mask:0xf bank_mask:0xf// 000000005428: 0AE2E2FA FF0055F8
	v_mul_f32_dpp v114, v248, v114 quad_perm:[2,2,2,2] row_mask:0xf bank_mask:0xf// 000000005430: 0AE4E4FA FF00AAF8
	v_mul_f32_dpp v115, v248, v115 quad_perm:[3,3,3,3] row_mask:0xf bank_mask:0xf// 000000005438: 0AE6E6FA FF00FFF8
	v_mul_f32_dpp v116, v249, v116 quad_perm:[0,0,0,0] row_mask:0xf bank_mask:0xf// 000000005440: 0AE8E8FA FF0000F9
	v_mul_f32_dpp v117, v249, v117 quad_perm:[1,1,1,1] row_mask:0xf bank_mask:0xf// 000000005448: 0AEAEAFA FF0055F9
	v_mul_f32_dpp v118, v249, v118 quad_perm:[2,2,2,2] row_mask:0xf bank_mask:0xf// 000000005450: 0AECECFA FF00AAF9
	v_mul_f32_dpp v119, v249, v119 quad_perm:[3,3,3,3] row_mask:0xf bank_mask:0xf// 000000005458: 0AEEEEFA FF00FFF9
	v_mul_f32_dpp v120, v250, v120 quad_perm:[0,0,0,0] row_mask:0xf bank_mask:0xf// 000000005460: 0AF0F0FA FF0000FA
	v_mul_f32_dpp v121, v250, v121 quad_perm:[1,1,1,1] row_mask:0xf bank_mask:0xf// 000000005468: 0AF2F2FA FF0055FA
	v_mul_f32_dpp v122, v250, v122 quad_perm:[2,2,2,2] row_mask:0xf bank_mask:0xf// 000000005470: 0AF4F4FA FF00AAFA
	v_mul_f32_dpp v123, v250, v123 quad_perm:[3,3,3,3] row_mask:0xf bank_mask:0xf// 000000005478: 0AF6F6FA FF00FFFA
	v_mul_f32_dpp v124, v251, v124 quad_perm:[0,0,0,0] row_mask:0xf bank_mask:0xf// 000000005480: 0AF8F8FA FF0000FB
	v_mul_f32_dpp v125, v251, v125 quad_perm:[1,1,1,1] row_mask:0xf bank_mask:0xf// 000000005488: 0AFAFAFA FF0055FB
	v_mul_f32_dpp v126, v251, v126 quad_perm:[2,2,2,2] row_mask:0xf bank_mask:0xf// 000000005490: 0AFCFCFA FF00AAFB
	v_mul_f32_dpp v127, v251, v127 quad_perm:[3,3,3,3] row_mask:0xf bank_mask:0xf// 000000005498: 0AFEFEFA FF00FFFB
	s_and_b32 s60, s72, 0xff                                   // 0000000054A0: 863CFF48 000000FF
	v_mov_b32_e32 v65, s60                                     // 0000000054A8: 7E82023C
	v_lshrrev_b32_e32 v240, 4, v0                              // 0000000054AC: 21E00084
	v_mul_i32_i24_e32 v240, 4, v240                            // 0000000054B0: 0DE1E084
	s_mul_i32 s60, s7, 16                                      // 0000000054B4: 923C9007
	v_add_u32_e32 v240, s60, v240                              // 0000000054B8: 69E1E03C
	v_add_u32_e32 v241, 1, v240                                // 0000000054BC: 69E3E081
	v_add_u32_e32 v242, 2, v240                                // 0000000054C0: 69E5E082
	v_add_u32_e32 v243, 3, v240                                // 0000000054C4: 69E7E083
	v_mov_b32_e32 v64, 0xff800000                              // 0000000054C8: 7E8002FF FF800000
	v_cmp_lt_u32_e64 s[40:41], v240, v65                       // 0000000054D0: D0C90028 000283F0
	v_add_u32_e32 v240, 64, v240                               // 0000000054D8: 69E1E0C0
	s_nop 0                                                    // 0000000054DC: BF800000
	v_cndmask_b32_e64 v112, v64, v112, s[40:41]                // 0000000054E0: D1000070 00A2E140
	v_cmp_lt_u32_e64 s[40:41], v241, v65                       // 0000000054E8: D0C90028 000283F1
	v_add_u32_e32 v241, 64, v241                               // 0000000054F0: 69E3E2C0
	s_nop 0                                                    // 0000000054F4: BF800000
	v_cndmask_b32_e64 v113, v64, v113, s[40:41]                // 0000000054F8: D1000071 00A2E340
	v_cmp_lt_u32_e64 s[40:41], v242, v65                       // 000000005500: D0C90028 000283F2
	v_add_u32_e32 v242, 64, v242                               // 000000005508: 69E5E4C0
	s_nop 0                                                    // 00000000550C: BF800000
	v_cndmask_b32_e64 v114, v64, v114, s[40:41]                // 000000005510: D1000072 00A2E540
	v_cmp_lt_u32_e64 s[40:41], v243, v65                       // 000000005518: D0C90028 000283F3
	v_add_u32_e32 v243, 64, v243                               // 000000005520: 69E7E6C0
	s_nop 0                                                    // 000000005524: BF800000
	v_cndmask_b32_e64 v115, v64, v115, s[40:41]                // 000000005528: D1000073 00A2E740
	v_cmp_lt_u32_e64 s[40:41], v240, v65                       // 000000005530: D0C90028 000283F0
	v_add_u32_e32 v240, 64, v240                               // 000000005538: 69E1E0C0
	s_nop 0                                                    // 00000000553C: BF800000
	v_cndmask_b32_e64 v116, v64, v116, s[40:41]                // 000000005540: D1000074 00A2E940
	v_cmp_lt_u32_e64 s[40:41], v241, v65                       // 000000005548: D0C90028 000283F1
	v_add_u32_e32 v241, 64, v241                               // 000000005550: 69E3E2C0
	s_nop 0                                                    // 000000005554: BF800000
	v_cndmask_b32_e64 v117, v64, v117, s[40:41]                // 000000005558: D1000075 00A2EB40
	v_cmp_lt_u32_e64 s[40:41], v242, v65                       // 000000005560: D0C90028 000283F2
	v_add_u32_e32 v242, 64, v242                               // 000000005568: 69E5E4C0
	s_nop 0                                                    // 00000000556C: BF800000
	v_cndmask_b32_e64 v118, v64, v118, s[40:41]                // 000000005570: D1000076 00A2ED40
	v_cmp_lt_u32_e64 s[40:41], v243, v65                       // 000000005578: D0C90028 000283F3
	v_add_u32_e32 v243, 64, v243                               // 000000005580: 69E7E6C0
	s_nop 0                                                    // 000000005584: BF800000
	v_cndmask_b32_e64 v119, v64, v119, s[40:41]                // 000000005588: D1000077 00A2EF40
	v_cmp_lt_u32_e64 s[40:41], v240, v65                       // 000000005590: D0C90028 000283F0
	v_add_u32_e32 v240, 64, v240                               // 000000005598: 69E1E0C0
	s_nop 0                                                    // 00000000559C: BF800000
	v_cndmask_b32_e64 v120, v64, v120, s[40:41]                // 0000000055A0: D1000078 00A2F140
	v_cmp_lt_u32_e64 s[40:41], v241, v65                       // 0000000055A8: D0C90028 000283F1
	v_add_u32_e32 v241, 64, v241                               // 0000000055B0: 69E3E2C0
	s_nop 0                                                    // 0000000055B4: BF800000
	v_cndmask_b32_e64 v121, v64, v121, s[40:41]                // 0000000055B8: D1000079 00A2F340
	v_cmp_lt_u32_e64 s[40:41], v242, v65                       // 0000000055C0: D0C90028 000283F2
	v_add_u32_e32 v242, 64, v242                               // 0000000055C8: 69E5E4C0
	s_nop 0                                                    // 0000000055CC: BF800000
	v_cndmask_b32_e64 v122, v64, v122, s[40:41]                // 0000000055D0: D100007A 00A2F540
	v_cmp_lt_u32_e64 s[40:41], v243, v65                       // 0000000055D8: D0C90028 000283F3
	v_add_u32_e32 v243, 64, v243                               // 0000000055E0: 69E7E6C0
	s_nop 0                                                    // 0000000055E4: BF800000
	v_cndmask_b32_e64 v123, v64, v123, s[40:41]                // 0000000055E8: D100007B 00A2F740
	v_cmp_lt_u32_e64 s[40:41], v240, v65                       // 0000000055F0: D0C90028 000283F0
	v_add_u32_e32 v240, 64, v240                               // 0000000055F8: 69E1E0C0
	s_nop 0                                                    // 0000000055FC: BF800000
	v_cndmask_b32_e64 v124, v64, v124, s[40:41]                // 000000005600: D100007C 00A2F940
	v_cmp_lt_u32_e64 s[40:41], v241, v65                       // 000000005608: D0C90028 000283F1
	v_add_u32_e32 v241, 64, v241                               // 000000005610: 69E3E2C0
	s_nop 0                                                    // 000000005614: BF800000
	v_cndmask_b32_e64 v125, v64, v125, s[40:41]                // 000000005618: D100007D 00A2FB40
	v_cmp_lt_u32_e64 s[40:41], v242, v65                       // 000000005620: D0C90028 000283F2
	v_add_u32_e32 v242, 64, v242                               // 000000005628: 69E5E4C0
	s_nop 0                                                    // 00000000562C: BF800000
	v_cndmask_b32_e64 v126, v64, v126, s[40:41]                // 000000005630: D100007E 00A2FD40
	v_cmp_lt_u32_e64 s[40:41], v243, v65                       // 000000005638: D0C90028 000283F3
	v_add_u32_e32 v243, 64, v243                               // 000000005640: 69E7E6C0
	s_nop 0                                                    // 000000005644: BF800000
	v_cndmask_b32_e64 v127, v64, v127, s[40:41]                // 000000005648: D100007F 00A2FF40
	v_mov_b32_e32 v48, v112                                    // 000000005650: 7E600370
	v_max3_f32 v48, v112, v113, v48                            // 000000005654: D1D30030 04C2E370
	v_max3_f32 v48, v114, v115, v48                            // 00000000565C: D1D30030 04C2E772
	v_max3_f32 v48, v116, v117, v48                            // 000000005664: D1D30030 04C2EB74
	v_max3_f32 v48, v118, v119, v48                            // 00000000566C: D1D30030 04C2EF76
	v_max3_f32 v48, v120, v121, v48                            // 000000005674: D1D30030 04C2F378
	v_max3_f32 v48, v122, v123, v48                            // 00000000567C: D1D30030 04C2F77A
	v_max3_f32 v48, v124, v125, v48                            // 000000005684: D1D30030 04C2FB7C
	v_max3_f32 v48, v126, v127, v48                            // 00000000568C: D1D30030 04C2FF7E
	ds_write_b32 v8, v48 offset:16896                          // 000000005694: D81A4200 00003008
	v_mul_u32_u24_dpp v64, v17, v54 row_newbcast:1 row_mask:0xf bank_mask:0xf// 00000000569C: 10806CFA FF015111
	v_mul_u32_u24_dpp v65, v17, v54 row_newbcast:5 row_mask:0xf bank_mask:0xf// 0000000056A4: 10826CFA FF015511
	v_mul_u32_u24_dpp v66, v17, v54 row_newbcast:9 row_mask:0xf bank_mask:0xf// 0000000056AC: 10846CFA FF015911
	v_mul_u32_u24_dpp v67, v17, v54 row_newbcast:13 row_mask:0xf bank_mask:0xf// 0000000056B4: 10866CFA FF015D11
	v_add_u32_e32 v34, v64, v6                                 // 0000000056BC: 68440D40
	v_add_u32_e32 v35, v65, v6                                 // 0000000056C0: 68460D41
	v_add_u32_e32 v36, v66, v6                                 // 0000000056C4: 68480D42
	v_add_u32_e32 v37, v67, v6                                 // 0000000056C8: 684A0D43
	v_mul_f32_e32 v208, v49, v208                              // 0000000056CC: 0BA1A131
	v_mul_f32_e32 v209, v49, v209                              // 0000000056D0: 0BA3A331
	v_mul_f32_e32 v210, v49, v210                              // 0000000056D4: 0BA5A531
	v_mul_f32_e32 v211, v49, v211                              // 0000000056D8: 0BA7A731
	v_mul_f32_e32 v212, v49, v212                              // 0000000056DC: 0BA9A931
	v_mul_f32_e32 v213, v49, v213                              // 0000000056E0: 0BABAB31
	v_mul_f32_e32 v214, v49, v214                              // 0000000056E4: 0BADAD31
	v_mul_f32_e32 v215, v49, v215                              // 0000000056E8: 0BAFAF31
	s_waitcnt lgkmcnt(0)                                       // 0000000056EC: BF8CC07F
	s_barrier                                                  // 0000000056F0: BF8A0000
	ds_read_b32 v64, v7 offset:16896                           // 0000000056F4: D86C4200 40000007
	ds_read_b32 v65, v7 offset:16960                           // 0000000056FC: D86C4240 41000007
	ds_read_b32 v66, v7 offset:17024                           // 000000005704: D86C4280 42000007
	ds_read_b32 v67, v7 offset:17088                           // 00000000570C: D86C42C0 43000007
	ds_read_b32 v68, v7 offset:17152                           // 000000005714: D86C4300 44000007
	ds_read_b32 v69, v7 offset:17216                           // 00000000571C: D86C4340 45000007
	ds_read_b32 v70, v7 offset:17280                           // 000000005724: D86C4380 46000007
	ds_read_b32 v71, v7 offset:17344                           // 00000000572C: D86C43C0 47000007
	ds_read_b32 v72, v7 offset:17408                           // 000000005734: D86C4400 48000007
	ds_read_b32 v73, v7 offset:17472                           // 00000000573C: D86C4440 49000007
	ds_read_b32 v74, v7 offset:17536                           // 000000005744: D86C4480 4A000007
	ds_read_b32 v75, v7 offset:17600                           // 00000000574C: D86C44C0 4B000007
	ds_read_b32 v76, v7 offset:17664                           // 000000005754: D86C4500 4C000007
	ds_read_b32 v77, v7 offset:17728                           // 00000000575C: D86C4540 4D000007
	ds_read_b32 v78, v7 offset:17792                           // 000000005764: D86C4580 4E000007
	ds_read_b32 v79, v7 offset:17856                           // 00000000576C: D86C45C0 4F000007
	v_cvt_f32_i32_e32 v176, v176                               // 000000005774: 7F600BB0
	v_cvt_f32_i32_e32 v177, v177                               // 000000005778: 7F620BB1
	v_cvt_f32_i32_e32 v178, v178                               // 00000000577C: 7F640BB2
	v_cvt_f32_i32_e32 v179, v179                               // 000000005780: 7F660BB3
	v_cvt_f32_i32_e32 v180, v180                               // 000000005784: 7F680BB4
	v_cvt_f32_i32_e32 v181, v181                               // 000000005788: 7F6A0BB5
	v_cvt_f32_i32_e32 v182, v182                               // 00000000578C: 7F6C0BB6
	v_cvt_f32_i32_e32 v183, v183                               // 000000005790: 7F6E0BB7
	v_mul_f32_e32 v176, v44, v176                              // 000000005794: 0B61612C
	v_mul_f32_e32 v177, v44, v177                              // 000000005798: 0B63632C
	v_mul_f32_e32 v178, v44, v178                              // 00000000579C: 0B65652C
	v_mul_f32_e32 v179, v44, v179                              // 0000000057A0: 0B67672C
	v_mul_f32_e32 v180, v44, v180                              // 0000000057A4: 0B69692C
	v_mul_f32_e32 v181, v44, v181                              // 0000000057A8: 0B6B6B2C
	v_mul_f32_e32 v182, v44, v182                              // 0000000057AC: 0B6D6D2C
	v_mul_f32_e32 v183, v44, v183                              // 0000000057B0: 0B6F6F2C
	s_waitcnt lgkmcnt(0)                                       // 0000000057B4: BF8CC07F
	v_max3_f32 v48, v64, v65, v48                              // 0000000057B8: D1D30030 04C28340
	v_max3_f32 v48, v66, v67, v48                              // 0000000057C0: D1D30030 04C28742
	v_max3_f32 v48, v68, v69, v48                              // 0000000057C8: D1D30030 04C28B44
	v_max3_f32 v48, v70, v71, v48                              // 0000000057D0: D1D30030 04C28F46
	v_max3_f32 v48, v72, v73, v48                              // 0000000057D8: D1D30030 04C29348
	v_max3_f32 v48, v74, v75, v48                              // 0000000057E0: D1D30030 04C2974A
	v_max3_f32 v48, v76, v77, v48                              // 0000000057E8: D1D30030 04C29B4C
	v_max3_f32 v48, v78, v79, v48                              // 0000000057F0: D1D30030 04C29F4E
	v_mov_b32_e32 v64, 0xff800000                              // 0000000057F8: 7E8002FF FF800000
	v_cmp_eq_u32_e64 s[40:41], v64, v11                        // 000000005800: D0CA0028 00021740
	s_nop 1                                                    // 000000005808: BF800001
	v_max_f32_e32 v15, v48, v11                                // 00000000580C: 161E1730
	v_mul_f32_e32 v53, s64, v15                                // 000000005810: 0A6A1E40
	v_fma_f32 v112, v112, s64, -v53                            // 000000005814: D1CB0070 84D48170
	v_fma_f32 v113, v113, s64, -v53                            // 00000000581C: D1CB0071 84D48171
	v_fma_f32 v114, v114, s64, -v53                            // 000000005824: D1CB0072 84D48172
	v_fma_f32 v115, v115, s64, -v53                            // 00000000582C: D1CB0073 84D48173
	v_fma_f32 v116, v116, s64, -v53                            // 000000005834: D1CB0074 84D48174
	v_fma_f32 v117, v117, s64, -v53                            // 00000000583C: D1CB0075 84D48175
	v_fma_f32 v118, v118, s64, -v53                            // 000000005844: D1CB0076 84D48176
	v_fma_f32 v119, v119, s64, -v53                            // 00000000584C: D1CB0077 84D48177
	v_fma_f32 v120, v120, s64, -v53                            // 000000005854: D1CB0078 84D48178
	v_fma_f32 v121, v121, s64, -v53                            // 00000000585C: D1CB0079 84D48179
	v_fma_f32 v122, v122, s64, -v53                            // 000000005864: D1CB007A 84D4817A
	v_fma_f32 v123, v123, s64, -v53                            // 00000000586C: D1CB007B 84D4817B
	v_fma_f32 v124, v124, s64, -v53                            // 000000005874: D1CB007C 84D4817C
	v_fma_f32 v125, v125, s64, -v53                            // 00000000587C: D1CB007D 84D4817D
	v_fma_f32 v126, v126, s64, -v53                            // 000000005884: D1CB007E 84D4817E
	v_fma_f32 v127, v127, s64, -v53                            // 00000000588C: D1CB007F 84D4817F
	v_exp_f32_e32 v112, v112                                   // 000000005894: 7EE04170
	v_exp_f32_e32 v113, v113                                   // 000000005898: 7EE24171
	v_exp_f32_e32 v114, v114                                   // 00000000589C: 7EE44172
	v_exp_f32_e32 v115, v115                                   // 0000000058A0: 7EE64173
	v_exp_f32_e32 v116, v116                                   // 0000000058A4: 7EE84174
	v_exp_f32_e32 v117, v117                                   // 0000000058A8: 7EEA4175
	v_exp_f32_e32 v118, v118                                   // 0000000058AC: 7EEC4176
	v_exp_f32_e32 v119, v119                                   // 0000000058B0: 7EEE4177
	v_exp_f32_e32 v120, v120                                   // 0000000058B4: 7EF04178
	v_exp_f32_e32 v121, v121                                   // 0000000058B8: 7EF24179
	v_exp_f32_e32 v122, v122                                   // 0000000058BC: 7EF4417A
	v_exp_f32_e32 v123, v123                                   // 0000000058C0: 7EF6417B
	v_exp_f32_e32 v124, v124                                   // 0000000058C4: 7EF8417C
	v_exp_f32_e32 v125, v125                                   // 0000000058C8: 7EFA417D
	v_exp_f32_e32 v126, v126                                   // 0000000058CC: 7EFC417E
	v_exp_f32_e32 v127, v127                                   // 0000000058D0: 7EFE417F
	v_mul_f32_dpp v240, v252, v112 quad_perm:[0,0,0,0] row_mask:0xf bank_mask:0xf// 0000000058D4: 0BE0E0FA FF0000FC
	v_mul_f32_dpp v241, v252, v113 quad_perm:[1,1,1,1] row_mask:0xf bank_mask:0xf// 0000000058DC: 0BE2E2FA FF0055FC
	v_mul_f32_dpp v242, v252, v114 quad_perm:[2,2,2,2] row_mask:0xf bank_mask:0xf// 0000000058E4: 0BE4E4FA FF00AAFC
	v_mul_f32_dpp v243, v252, v115 quad_perm:[3,3,3,3] row_mask:0xf bank_mask:0xf// 0000000058EC: 0BE6E6FA FF00FFFC
	v_mul_f32_dpp v244, v253, v116 quad_perm:[0,0,0,0] row_mask:0xf bank_mask:0xf// 0000000058F4: 0BE8E8FA FF0000FD
	v_mul_f32_dpp v245, v253, v117 quad_perm:[1,1,1,1] row_mask:0xf bank_mask:0xf// 0000000058FC: 0BEAEAFA FF0055FD
	v_mul_f32_dpp v246, v253, v118 quad_perm:[2,2,2,2] row_mask:0xf bank_mask:0xf// 000000005904: 0BECECFA FF00AAFD
	v_mul_f32_dpp v247, v253, v119 quad_perm:[3,3,3,3] row_mask:0xf bank_mask:0xf// 00000000590C: 0BEEEEFA FF00FFFD
	v_mul_f32_dpp v248, v254, v120 quad_perm:[0,0,0,0] row_mask:0xf bank_mask:0xf// 000000005914: 0BF0F0FA FF0000FE
	v_mul_f32_dpp v249, v254, v121 quad_perm:[1,1,1,1] row_mask:0xf bank_mask:0xf// 00000000591C: 0BF2F2FA FF0055FE
	v_mul_f32_dpp v250, v254, v122 quad_perm:[2,2,2,2] row_mask:0xf bank_mask:0xf// 000000005924: 0BF4F4FA FF00AAFE
	v_mul_f32_dpp v251, v254, v123 quad_perm:[3,3,3,3] row_mask:0xf bank_mask:0xf// 00000000592C: 0BF6F6FA FF00FFFE
	v_mul_f32_dpp v252, v255, v124 quad_perm:[0,0,0,0] row_mask:0xf bank_mask:0xf// 000000005934: 0BF8F8FA FF0000FF
	v_mul_f32_dpp v253, v255, v125 quad_perm:[1,1,1,1] row_mask:0xf bank_mask:0xf// 00000000593C: 0BFAFAFA FF0055FF
	v_mul_f32_dpp v254, v255, v126 quad_perm:[2,2,2,2] row_mask:0xf bank_mask:0xf// 000000005944: 0BFCFCFA FF00AAFF
	v_mul_f32_dpp v255, v255, v127 quad_perm:[3,3,3,3] row_mask:0xf bank_mask:0xf// 00000000594C: 0BFEFEFA FF00FFFF
	v_mov_b32_e32 v48, 0x358637bd                              // 000000005954: 7E6002FF 358637BD
	v_max3_f32 v48, |v240|, |v241|, v48                        // 00000000595C: D1D30330 04C3E3F0
	v_max3_f32 v48, |v242|, |v243|, v48                        // 000000005964: D1D30330 04C3E7F2
	v_max3_f32 v48, |v244|, |v245|, v48                        // 00000000596C: D1D30330 04C3EBF4
	v_max3_f32 v48, |v246|, |v247|, v48                        // 000000005974: D1D30330 04C3EFF6
	v_max3_f32 v48, |v248|, |v249|, v48                        // 00000000597C: D1D30330 04C3F3F8
	v_max3_f32 v48, |v250|, |v251|, v48                        // 000000005984: D1D30330 04C3F7FA
	v_max3_f32 v48, |v252|, |v253|, v48                        // 00000000598C: D1D30330 04C3FBFC
	v_max3_f32 v48, |v254|, |v255|, v48                        // 000000005994: D1D30330 04C3FFFE
	ds_write_b32 v8, v48 offset:20992                          // 00000000599C: D81A5200 00003008
	v_sub_f32_e32 v49, v11, v15                                // 0000000059A4: 04621F0B
	v_cndmask_b32_e64 v49, v49, 0, s[40:41]                    // 0000000059A8: D1000031 00A10131
	v_mov_b32_e32 v11, v15                                     // 0000000059B0: 7E16030F
	v_mul_f32_e32 v49, s64, v49                                // 0000000059B4: 0A626240
	v_exp_f32_e32 v49, v49                                     // 0000000059B8: 7E624131
	s_waitcnt lgkmcnt(0)                                       // 0000000059BC: BF8CC07F
	s_barrier                                                  // 0000000059C0: BF8A0000
	ds_read_b32 v64, v7 offset:20992                           // 0000000059C4: D86C5200 40000007
	ds_read_b32 v65, v7 offset:21056                           // 0000000059CC: D86C5240 41000007
	ds_read_b32 v66, v7 offset:21120                           // 0000000059D4: D86C5280 42000007
	ds_read_b32 v67, v7 offset:21184                           // 0000000059DC: D86C52C0 43000007
	ds_read_b32 v68, v7 offset:21248                           // 0000000059E4: D86C5300 44000007
	ds_read_b32 v69, v7 offset:21312                           // 0000000059EC: D86C5340 45000007
	ds_read_b32 v70, v7 offset:21376                           // 0000000059F4: D86C5380 46000007
	ds_read_b32 v71, v7 offset:21440                           // 0000000059FC: D86C53C0 47000007
	ds_read_b32 v72, v7 offset:21504                           // 000000005A04: D86C5400 48000007
	ds_read_b32 v73, v7 offset:21568                           // 000000005A0C: D86C5440 49000007
	ds_read_b32 v74, v7 offset:21632                           // 000000005A14: D86C5480 4A000007
	ds_read_b32 v75, v7 offset:21696                           // 000000005A1C: D86C54C0 4B000007
	ds_read_b32 v76, v7 offset:21760                           // 000000005A24: D86C5500 4C000007
	ds_read_b32 v77, v7 offset:21824                           // 000000005A2C: D86C5540 4D000007
	ds_read_b32 v78, v7 offset:21888                           // 000000005A34: D86C5580 4E000007
	ds_read_b32 v79, v7 offset:21952                           // 000000005A3C: D86C55C0 4F000007
	v_mul_f32_e32 v38, v49, v38                                // 000000005A44: 0A4C4D31
	v_mov_b32_e32 v15, v112                                    // 000000005A48: 7E1E0370
	v_add_f32_e32 v15, v113, v15                               // 000000005A4C: 021E1F71
	v_add_f32_e32 v15, v114, v15                               // 000000005A50: 021E1F72
	v_add_f32_e32 v15, v115, v15                               // 000000005A54: 021E1F73
	v_add_f32_e32 v15, v116, v15                               // 000000005A58: 021E1F74
	v_add_f32_e32 v15, v117, v15                               // 000000005A5C: 021E1F75
	v_add_f32_e32 v15, v118, v15                               // 000000005A60: 021E1F76
	v_add_f32_e32 v15, v119, v15                               // 000000005A64: 021E1F77
	v_add_f32_e32 v15, v120, v15                               // 000000005A68: 021E1F78
	v_add_f32_e32 v15, v121, v15                               // 000000005A6C: 021E1F79
	v_add_f32_e32 v15, v122, v15                               // 000000005A70: 021E1F7A
	v_add_f32_e32 v15, v123, v15                               // 000000005A74: 021E1F7B
	v_add_f32_e32 v15, v124, v15                               // 000000005A78: 021E1F7C
	v_add_f32_e32 v15, v125, v15                               // 000000005A7C: 021E1F7D
	v_add_f32_e32 v15, v126, v15                               // 000000005A80: 021E1F7E
	v_add_f32_e32 v15, v127, v15                               // 000000005A84: 021E1F7F
	v_add_f32_e32 v38, v15, v38                                // 000000005A88: 024C4D0F
	s_waitcnt lgkmcnt(0)                                       // 000000005A8C: BF8CC07F
	v_max3_f32 v48, |v64|, |v65|, v48                          // 000000005A90: D1D30330 04C28340
	v_max3_f32 v48, |v66|, |v67|, v48                          // 000000005A98: D1D30330 04C28742
	v_max3_f32 v48, |v68|, |v69|, v48                          // 000000005AA0: D1D30330 04C28B44
	v_max3_f32 v48, |v70|, |v71|, v48                          // 000000005AA8: D1D30330 04C28F46
	v_max3_f32 v48, |v72|, |v73|, v48                          // 000000005AB0: D1D30330 04C29348
	v_max3_f32 v48, |v74|, |v75|, v48                          // 000000005AB8: D1D30330 04C2974A
	v_max3_f32 v48, |v76|, |v77|, v48                          // 000000005AC0: D1D30330 04C29B4C
	v_max3_f32 v48, |v78|, |v79|, v48                          // 000000005AC8: D1D30330 04C29F4E
	s_nop 2                                                    // 000000005AD0: BF800002
	v_rcp_f32_e32 v48, v48                                     // 000000005AD4: 7E604530
	s_nop 1                                                    // 000000005AD8: BF800001
	v_mul_f32_e32 v48, 0x42fe0000, v48                         // 000000005ADC: 0A6060FF 42FE0000
	v_mul_f32_e32 v112, v48, v240                              // 000000005AE4: 0AE1E130
	v_mul_f32_e32 v113, v48, v241                              // 000000005AE8: 0AE3E330
	v_mul_f32_e32 v114, v48, v242                              // 000000005AEC: 0AE5E530
	v_mul_f32_e32 v115, v48, v243                              // 000000005AF0: 0AE7E730
	v_mul_f32_e32 v116, v48, v244                              // 000000005AF4: 0AE9E930
	v_mul_f32_e32 v117, v48, v245                              // 000000005AF8: 0AEBEB30
	v_mul_f32_e32 v118, v48, v246                              // 000000005AFC: 0AEDED30
	v_mul_f32_e32 v119, v48, v247                              // 000000005B00: 0AEFEF30
	v_mul_f32_e32 v120, v48, v248                              // 000000005B04: 0AF1F130
	v_mul_f32_e32 v121, v48, v249                              // 000000005B08: 0AF3F330
	v_mul_f32_e32 v122, v48, v250                              // 000000005B0C: 0AF5F530
	v_mul_f32_e32 v123, v48, v251                              // 000000005B10: 0AF7F730
	v_mul_f32_e32 v124, v48, v252                              // 000000005B14: 0AF9F930
	v_mul_f32_e32 v125, v48, v253                              // 000000005B18: 0AFBFB30
	v_mul_f32_e32 v126, v48, v254                              // 000000005B1C: 0AFDFD30
	v_mul_f32_e32 v127, v48, v255                              // 000000005B20: 0AFFFF30
	v_cvt_i32_f32_e32 v112, v112                               // 000000005B24: 7EE01170
	v_cvt_i32_f32_e32 v113, v113                               // 000000005B28: 7EE21171
	v_cvt_i32_f32_e32 v114, v114                               // 000000005B2C: 7EE41172
	v_cvt_i32_f32_e32 v115, v115                               // 000000005B30: 7EE61173
	v_cvt_i32_f32_e32 v116, v116                               // 000000005B34: 7EE81174
	v_cvt_i32_f32_e32 v117, v117                               // 000000005B38: 7EEA1175
	v_cvt_i32_f32_e32 v118, v118                               // 000000005B3C: 7EEC1176
	v_cvt_i32_f32_e32 v119, v119                               // 000000005B40: 7EEE1177
	v_cvt_i32_f32_e32 v120, v120                               // 000000005B44: 7EF01178
	v_cvt_i32_f32_e32 v121, v121                               // 000000005B48: 7EF21179
	v_cvt_i32_f32_e32 v122, v122                               // 000000005B4C: 7EF4117A
	v_cvt_i32_f32_e32 v123, v123                               // 000000005B50: 7EF6117B
	v_cvt_i32_f32_e32 v124, v124                               // 000000005B54: 7EF8117C
	v_cvt_i32_f32_e32 v125, v125                               // 000000005B58: 7EFA117D
	v_cvt_i32_f32_e32 v126, v126                               // 000000005B5C: 7EFC117E
	v_cvt_i32_f32_e32 v127, v127                               // 000000005B60: 7EFE117F
	v_perm_b32 v112, v113, v112, s53                           // 000000005B64: D1ED0070 00D6E171
	v_perm_b32 v112, v114, v112, s54                           // 000000005B6C: D1ED0070 00DAE172
	v_perm_b32 v112, v115, v112, s55                           // 000000005B74: D1ED0070 00DEE173
	v_perm_b32 v113, v117, v116, s53                           // 000000005B7C: D1ED0071 00D6E975
	v_perm_b32 v113, v118, v113, s54                           // 000000005B84: D1ED0071 00DAE376
	v_perm_b32 v113, v119, v113, s55                           // 000000005B8C: D1ED0071 00DEE377
	v_perm_b32 v114, v121, v120, s53                           // 000000005B94: D1ED0072 00D6F179
	v_perm_b32 v114, v122, v114, s54                           // 000000005B9C: D1ED0072 00DAE57A
	v_perm_b32 v114, v123, v114, s55                           // 000000005BA4: D1ED0072 00DEE57B
	v_perm_b32 v115, v125, v124, s53                           // 000000005BAC: D1ED0073 00D6F97D
	v_perm_b32 v115, v126, v115, s54                           // 000000005BB4: D1ED0073 00DAE77E
	v_perm_b32 v115, v127, v115, s55                           // 000000005BBC: D1ED0073 00DEE77F
	ds_write_b32 v10, v112 offset:25088                        // 000000005BC4: D81A6200 0000700A
	ds_write_b32 v10, v113 offset:26112                        // 000000005BCC: D81A6600 0000710A
	ds_write_b32 v10, v114 offset:27136                        // 000000005BD4: D81A6A00 0000720A
	ds_write_b32 v10, v115 offset:28160                        // 000000005BDC: D81A6E00 0000730A
	v_add_f32_e32 v208, v208, v176                             // 000000005BE4: 03A161D0
	v_add_f32_e32 v209, v209, v177                             // 000000005BE8: 03A363D1
	v_add_f32_e32 v210, v210, v178                             // 000000005BEC: 03A565D2
	v_add_f32_e32 v211, v211, v179                             // 000000005BF0: 03A767D3
	v_add_f32_e32 v212, v212, v180                             // 000000005BF4: 03A969D4
	v_add_f32_e32 v213, v213, v181                             // 000000005BF8: 03AB6BD5
	v_add_f32_e32 v214, v214, v182                             // 000000005BFC: 03AD6DD6
	v_add_f32_e32 v215, v215, v183                             // 000000005C00: 03AF6FD7
	v_rcp_f32_e32 v44, v48                                     // 000000005C04: 7E584530
	s_waitcnt lgkmcnt(0)                                       // 000000005C08: BF8CC07F
	s_barrier                                                  // 000000005C0C: BF8A0000
	ds_read_b64 v[112:113], v9 offset:25088                    // 000000005C10: D8EC6200 70000009
	ds_read_b64 v[114:115], v9 offset:25216                    // 000000005C18: D8EC6280 72000009
	ds_read_b64 v[116:117], v9 offset:26112                    // 000000005C20: D8EC6600 74000009
	ds_read_b64 v[118:119], v9 offset:26240                    // 000000005C28: D8EC6680 76000009
	ds_read_b64 v[120:121], v9 offset:27136                    // 000000005C30: D8EC6A00 78000009
	ds_read_b64 v[122:123], v9 offset:27264                    // 000000005C38: D8EC6A80 7A000009
	ds_read_b64 v[124:125], v9 offset:28160                    // 000000005C40: D8EC6E00 7C000009
	ds_read_b64 v[126:127], v9 offset:28288                    // 000000005C48: D8EC6E80 7E000009
	s_waitcnt vmcnt(0)                                         // 000000005C50: BF8C0F70
	s_barrier                                                  // 000000005C54: BF8A0000
	s_waitcnt lgkmcnt(7)                                       // 000000005C58: BF8CC77F
	v_mfma_i32_16x16x32_i8 v[176:179], a[64:65], v[112:113], 0 // 000000005C5C: D3D700B0 0A02E140
	s_waitcnt lgkmcnt(6)                                       // 000000005C64: BF8CC67F
	v_mfma_i32_16x16x32_i8 v[176:179], a[66:67], v[114:115], v[176:179]// 000000005C68: D3D700B0 0EC2E542
	s_waitcnt lgkmcnt(5)                                       // 000000005C70: BF8CC57F
	v_mfma_i32_16x16x32_i8 v[176:179], a[68:69], v[116:117], v[176:179]// 000000005C74: D3D700B0 0EC2E944
	s_waitcnt lgkmcnt(4)                                       // 000000005C7C: BF8CC47F
	v_mfma_i32_16x16x32_i8 v[176:179], a[70:71], v[118:119], v[176:179]// 000000005C80: D3D700B0 0EC2ED46
	s_waitcnt lgkmcnt(3)                                       // 000000005C88: BF8CC37F
	v_mfma_i32_16x16x32_i8 v[176:179], a[72:73], v[120:121], v[176:179]// 000000005C8C: D3D700B0 0EC2F148
	s_waitcnt lgkmcnt(2)                                       // 000000005C94: BF8CC27F
	v_mfma_i32_16x16x32_i8 v[176:179], a[74:75], v[122:123], v[176:179]// 000000005C98: D3D700B0 0EC2F54A
	s_waitcnt lgkmcnt(1)                                       // 000000005CA0: BF8CC17F
	v_mfma_i32_16x16x32_i8 v[176:179], a[76:77], v[124:125], v[176:179]// 000000005CA4: D3D700B0 0EC2F94C
	s_waitcnt lgkmcnt(0)                                       // 000000005CAC: BF8CC07F
	v_mfma_i32_16x16x32_i8 v[176:179], a[78:79], v[126:127], v[176:179]// 000000005CB0: D3D700B0 0EC2FD4E
	v_mfma_i32_16x16x32_i8 v[180:183], a[80:81], v[112:113], 0 // 000000005CB8: D3D700B4 0A02E150
	v_mfma_i32_16x16x32_i8 v[180:183], a[82:83], v[114:115], v[180:183]// 000000005CC0: D3D700B4 0ED2E552
	v_mfma_i32_16x16x32_i8 v[180:183], a[84:85], v[116:117], v[180:183]// 000000005CC8: D3D700B4 0ED2E954
	v_mfma_i32_16x16x32_i8 v[180:183], a[86:87], v[118:119], v[180:183]// 000000005CD0: D3D700B4 0ED2ED56
	v_mfma_i32_16x16x32_i8 v[180:183], a[88:89], v[120:121], v[180:183]// 000000005CD8: D3D700B4 0ED2F158
	v_mfma_i32_16x16x32_i8 v[180:183], a[90:91], v[122:123], v[180:183]// 000000005CE0: D3D700B4 0ED2F55A
	v_mfma_i32_16x16x32_i8 v[180:183], a[92:93], v[124:125], v[180:183]// 000000005CE8: D3D700B4 0ED2F95C
	v_mfma_i32_16x16x32_i8 v[180:183], a[94:95], v[126:127], v[180:183]// 000000005CF0: D3D700B4 0ED2FD5E
	s_nop 4                                                    // 000000005CF8: BF800004
	s_branch label_116E                                        // 000000005CFC: BF8202AE

0000000000005d00 <label_0EC0>:
	s_waitcnt vmcnt(8) lgkmcnt(0)                              // 000000005D00: BF8C0078
	s_barrier                                                  // 000000005D04: BF8A0000
	v_mfma_i32_16x16x32_i8 v[112:115], a[32:33], v[80:81], 0   // 000000005D08: D3D70070 0A02A120
	v_mfma_i32_16x16x32_i8 v[112:115], a[34:35], v[82:83], v[112:115]// 000000005D10: D3D70070 0DC2A522
	v_mfma_i32_16x16x32_i8 v[112:115], a[36:37], v[84:85], v[112:115]// 000000005D18: D3D70070 0DC2A924
	v_mfma_i32_16x16x32_i8 v[112:115], a[38:39], v[86:87], v[112:115]// 000000005D20: D3D70070 0DC2AD26
	v_mfma_i32_16x16x32_i8 v[116:119], a[40:41], v[80:81], 0   // 000000005D28: D3D70074 0A02A128
	v_mfma_i32_16x16x32_i8 v[116:119], a[42:43], v[82:83], v[116:119]// 000000005D30: D3D70074 0DD2A52A
	v_mfma_i32_16x16x32_i8 v[116:119], a[44:45], v[84:85], v[116:119]// 000000005D38: D3D70074 0DD2A92C
	v_mfma_i32_16x16x32_i8 v[116:119], a[46:47], v[86:87], v[116:119]// 000000005D40: D3D70074 0DD2AD2E
	v_mfma_i32_16x16x32_i8 v[120:123], a[48:49], v[80:81], 0   // 000000005D48: D3D70078 0A02A130
	v_mfma_i32_16x16x32_i8 v[120:123], a[50:51], v[82:83], v[120:123]// 000000005D50: D3D70078 0DE2A532
	v_mfma_i32_16x16x32_i8 v[120:123], a[52:53], v[84:85], v[120:123]// 000000005D58: D3D70078 0DE2A934
	v_mfma_i32_16x16x32_i8 v[120:123], a[54:55], v[86:87], v[120:123]// 000000005D60: D3D70078 0DE2AD36
	v_mfma_i32_16x16x32_i8 v[124:127], a[56:57], v[80:81], 0   // 000000005D68: D3D7007C 0A02A138
	v_mfma_i32_16x16x32_i8 v[124:127], a[58:59], v[82:83], v[124:127]// 000000005D70: D3D7007C 0DF2A53A
	v_mfma_i32_16x16x32_i8 v[124:127], a[60:61], v[84:85], v[124:127]// 000000005D78: D3D7007C 0DF2A93C
	v_mfma_i32_16x16x32_i8 v[124:127], a[62:63], v[86:87], v[124:127]// 000000005D80: D3D7007C 0DF2AD3E
	v_mov_b32_dpp v64, v43 row_shr:4 row_mask:0xf bank_mask:0xf// 000000005D88: 7E8002FA FF01142B
	v_mov_b32_dpp v65, v43 row_shl:4 row_mask:0xf bank_mask:0xf// 000000005D90: 7E8202FA FF01042B
	v_cndmask_b32_e64 v248, v43, v64, s[44:45]                 // 000000005D98: D10000F8 00B2812B
	v_cndmask_b32_e64 v249, v65, v43, s[44:45]                 // 000000005DA0: D10000F9 00B25741
	v_mov_b32_dpp v64, v248 row_shr:8 row_mask:0xf bank_mask:0xf// 000000005DA8: 7E8002FA FF0118F8
	v_mov_b32_dpp v65, v248 row_shl:8 row_mask:0xf bank_mask:0xf// 000000005DB0: 7E8202FA FF0108F8
	v_mov_b32_dpp v66, v249 row_shr:8 row_mask:0xf bank_mask:0xf// 000000005DB8: 7E8402FA FF0118F9
	v_mov_b32_dpp v67, v249 row_shl:8 row_mask:0xf bank_mask:0xf// 000000005DC0: 7E8602FA FF0108F9
	v_mov_b32_e32 v68, v248                                    // 000000005DC8: 7E8803F8
	v_mov_b32_e32 v69, v249                                    // 000000005DCC: 7E8A03F9
	v_cndmask_b32_e64 v248, v68, v64, s[42:43]                 // 000000005DD0: D10000F8 00AA8144
	v_cndmask_b32_e64 v250, v68, v65, s[78:79]                 // 000000005DD8: D10000FA 013A8344
	v_cndmask_b32_e64 v249, v69, v66, s[42:43]                 // 000000005DE0: D10000F9 00AA8545
	v_cndmask_b32_e64 v251, v69, v67, s[78:79]                 // 000000005DE8: D10000FB 013A8745
	v_mov_b32_dpp v64, v58 row_shr:4 row_mask:0xf bank_mask:0xf// 000000005DF0: 7E8002FA FF01143A
	v_mov_b32_dpp v65, v58 row_shl:4 row_mask:0xf bank_mask:0xf// 000000005DF8: 7E8202FA FF01043A
	v_cndmask_b32_e64 v252, v58, v64, s[44:45]                 // 000000005E00: D10000FC 00B2813A
	v_cndmask_b32_e64 v253, v65, v58, s[44:45]                 // 000000005E08: D10000FD 00B27541
	v_mov_b32_dpp v64, v252 row_shr:8 row_mask:0xf bank_mask:0xf// 000000005E10: 7E8002FA FF0118FC
	v_mov_b32_dpp v65, v252 row_shl:8 row_mask:0xf bank_mask:0xf// 000000005E18: 7E8202FA FF0108FC
	v_mov_b32_dpp v66, v253 row_shr:8 row_mask:0xf bank_mask:0xf// 000000005E20: 7E8402FA FF0118FD
	v_mov_b32_dpp v67, v253 row_shl:8 row_mask:0xf bank_mask:0xf// 000000005E28: 7E8602FA FF0108FD
	v_mov_b32_e32 v68, v252                                    // 000000005E30: 7E8803FC
	v_mov_b32_e32 v69, v253                                    // 000000005E34: 7E8A03FD
	v_cndmask_b32_e64 v252, v68, v64, s[42:43]                 // 000000005E38: D10000FC 00AA8144
	v_cndmask_b32_e64 v254, v68, v65, s[78:79]                 // 000000005E40: D10000FE 013A8344
	v_cndmask_b32_e64 v253, v69, v66, s[42:43]                 // 000000005E48: D10000FD 00AA8545
	v_cndmask_b32_e64 v255, v69, v67, s[78:79]                 // 000000005E50: D10000FF 013A8745
	v_cvt_f32_i32_e32 v112, v112                               // 000000005E58: 7EE00B70
	v_cvt_f32_i32_e32 v113, v113                               // 000000005E5C: 7EE20B71
	v_cvt_f32_i32_e32 v114, v114                               // 000000005E60: 7EE40B72
	v_cvt_f32_i32_e32 v115, v115                               // 000000005E64: 7EE60B73
	v_cvt_f32_i32_e32 v116, v116                               // 000000005E68: 7EE80B74
	v_cvt_f32_i32_e32 v117, v117                               // 000000005E6C: 7EEA0B75
	v_cvt_f32_i32_e32 v118, v118                               // 000000005E70: 7EEC0B76
	v_cvt_f32_i32_e32 v119, v119                               // 000000005E74: 7EEE0B77
	v_cvt_f32_i32_e32 v120, v120                               // 000000005E78: 7EF00B78
	v_cvt_f32_i32_e32 v121, v121                               // 000000005E7C: 7EF20B79
	v_cvt_f32_i32_e32 v122, v122                               // 000000005E80: 7EF40B7A
	v_cvt_f32_i32_e32 v123, v123                               // 000000005E84: 7EF60B7B
	v_cvt_f32_i32_e32 v124, v124                               // 000000005E88: 7EF80B7C
	v_cvt_f32_i32_e32 v125, v125                               // 000000005E8C: 7EFA0B7D
	v_cvt_f32_i32_e32 v126, v126                               // 000000005E90: 7EFC0B7E
	v_cvt_f32_i32_e32 v127, v127                               // 000000005E94: 7EFE0B7F
	v_mul_f32_e32 v112, v18, v112                              // 000000005E98: 0AE0E112
	v_mul_f32_e32 v113, v18, v113                              // 000000005E9C: 0AE2E312
	v_mul_f32_e32 v114, v18, v114                              // 000000005EA0: 0AE4E512
	v_mul_f32_e32 v115, v18, v115                              // 000000005EA4: 0AE6E712
	v_mul_f32_e32 v116, v18, v116                              // 000000005EA8: 0AE8E912
	v_mul_f32_e32 v117, v18, v117                              // 000000005EAC: 0AEAEB12
	v_mul_f32_e32 v118, v18, v118                              // 000000005EB0: 0AECED12
	v_mul_f32_e32 v119, v18, v119                              // 000000005EB4: 0AEEEF12
	v_mul_f32_e32 v120, v18, v120                              // 000000005EB8: 0AF0F112
	v_mul_f32_e32 v121, v18, v121                              // 000000005EBC: 0AF2F312
	v_mul_f32_e32 v122, v18, v122                              // 000000005EC0: 0AF4F512
	v_mul_f32_e32 v123, v18, v123                              // 000000005EC4: 0AF6F712
	v_mul_f32_e32 v124, v18, v124                              // 000000005EC8: 0AF8F912
	v_mul_f32_e32 v125, v18, v125                              // 000000005ECC: 0AFAFB12
	v_mul_f32_e32 v126, v18, v126                              // 000000005ED0: 0AFCFD12
	v_mul_f32_e32 v127, v18, v127                              // 000000005ED4: 0AFEFF12
	v_mul_f32_dpp v112, v248, v112 quad_perm:[0,0,0,0] row_mask:0xf bank_mask:0xf// 000000005ED8: 0AE0E0FA FF0000F8
	v_mul_f32_dpp v113, v248, v113 quad_perm:[1,1,1,1] row_mask:0xf bank_mask:0xf// 000000005EE0: 0AE2E2FA FF0055F8
	v_mul_f32_dpp v114, v248, v114 quad_perm:[2,2,2,2] row_mask:0xf bank_mask:0xf// 000000005EE8: 0AE4E4FA FF00AAF8
	v_mul_f32_dpp v115, v248, v115 quad_perm:[3,3,3,3] row_mask:0xf bank_mask:0xf// 000000005EF0: 0AE6E6FA FF00FFF8
	v_mul_f32_dpp v116, v249, v116 quad_perm:[0,0,0,0] row_mask:0xf bank_mask:0xf// 000000005EF8: 0AE8E8FA FF0000F9
	v_mul_f32_dpp v117, v249, v117 quad_perm:[1,1,1,1] row_mask:0xf bank_mask:0xf// 000000005F00: 0AEAEAFA FF0055F9
	v_mul_f32_dpp v118, v249, v118 quad_perm:[2,2,2,2] row_mask:0xf bank_mask:0xf// 000000005F08: 0AECECFA FF00AAF9
	v_mul_f32_dpp v119, v249, v119 quad_perm:[3,3,3,3] row_mask:0xf bank_mask:0xf// 000000005F10: 0AEEEEFA FF00FFF9
	v_mul_f32_dpp v120, v250, v120 quad_perm:[0,0,0,0] row_mask:0xf bank_mask:0xf// 000000005F18: 0AF0F0FA FF0000FA
	v_mul_f32_dpp v121, v250, v121 quad_perm:[1,1,1,1] row_mask:0xf bank_mask:0xf// 000000005F20: 0AF2F2FA FF0055FA
	v_mul_f32_dpp v122, v250, v122 quad_perm:[2,2,2,2] row_mask:0xf bank_mask:0xf// 000000005F28: 0AF4F4FA FF00AAFA
	v_mul_f32_dpp v123, v250, v123 quad_perm:[3,3,3,3] row_mask:0xf bank_mask:0xf// 000000005F30: 0AF6F6FA FF00FFFA
	v_mul_f32_dpp v124, v251, v124 quad_perm:[0,0,0,0] row_mask:0xf bank_mask:0xf// 000000005F38: 0AF8F8FA FF0000FB
	v_mul_f32_dpp v125, v251, v125 quad_perm:[1,1,1,1] row_mask:0xf bank_mask:0xf// 000000005F40: 0AFAFAFA FF0055FB
	v_mul_f32_dpp v126, v251, v126 quad_perm:[2,2,2,2] row_mask:0xf bank_mask:0xf// 000000005F48: 0AFCFCFA FF00AAFB
	v_mul_f32_dpp v127, v251, v127 quad_perm:[3,3,3,3] row_mask:0xf bank_mask:0xf// 000000005F50: 0AFEFEFA FF00FFFB
	s_and_b32 s60, s72, 0xff                                   // 000000005F58: 863CFF48 000000FF
	v_mov_b32_e32 v65, s60                                     // 000000005F60: 7E82023C
	v_lshrrev_b32_e32 v240, 4, v0                              // 000000005F64: 21E00084
	v_mul_i32_i24_e32 v240, 4, v240                            // 000000005F68: 0DE1E084
	s_mul_i32 s60, s7, 16                                      // 000000005F6C: 923C9007
	v_add_u32_e32 v240, s60, v240                              // 000000005F70: 69E1E03C
	v_add_u32_e32 v241, 1, v240                                // 000000005F74: 69E3E081
	v_add_u32_e32 v242, 2, v240                                // 000000005F78: 69E5E082
	v_add_u32_e32 v243, 3, v240                                // 000000005F7C: 69E7E083
	v_mov_b32_e32 v64, 0xff800000                              // 000000005F80: 7E8002FF FF800000
	v_cmp_lt_u32_e64 s[40:41], v240, v65                       // 000000005F88: D0C90028 000283F0
	v_add_u32_e32 v240, 64, v240                               // 000000005F90: 69E1E0C0
	s_nop 0                                                    // 000000005F94: BF800000
	v_cndmask_b32_e64 v112, v64, v112, s[40:41]                // 000000005F98: D1000070 00A2E140
	v_cmp_lt_u32_e64 s[40:41], v241, v65                       // 000000005FA0: D0C90028 000283F1
	v_add_u32_e32 v241, 64, v241                               // 000000005FA8: 69E3E2C0
	s_nop 0                                                    // 000000005FAC: BF800000
	v_cndmask_b32_e64 v113, v64, v113, s[40:41]                // 000000005FB0: D1000071 00A2E340
	v_cmp_lt_u32_e64 s[40:41], v242, v65                       // 000000005FB8: D0C90028 000283F2
	v_add_u32_e32 v242, 64, v242                               // 000000005FC0: 69E5E4C0
	s_nop 0                                                    // 000000005FC4: BF800000
	v_cndmask_b32_e64 v114, v64, v114, s[40:41]                // 000000005FC8: D1000072 00A2E540
	v_cmp_lt_u32_e64 s[40:41], v243, v65                       // 000000005FD0: D0C90028 000283F3
	v_add_u32_e32 v243, 64, v243                               // 000000005FD8: 69E7E6C0
	s_nop 0                                                    // 000000005FDC: BF800000
	v_cndmask_b32_e64 v115, v64, v115, s[40:41]                // 000000005FE0: D1000073 00A2E740
	v_cmp_lt_u32_e64 s[40:41], v240, v65                       // 000000005FE8: D0C90028 000283F0
	v_add_u32_e32 v240, 64, v240                               // 000000005FF0: 69E1E0C0
	s_nop 0                                                    // 000000005FF4: BF800000
	v_cndmask_b32_e64 v116, v64, v116, s[40:41]                // 000000005FF8: D1000074 00A2E940
	v_cmp_lt_u32_e64 s[40:41], v241, v65                       // 000000006000: D0C90028 000283F1
	v_add_u32_e32 v241, 64, v241                               // 000000006008: 69E3E2C0
	s_nop 0                                                    // 00000000600C: BF800000
	v_cndmask_b32_e64 v117, v64, v117, s[40:41]                // 000000006010: D1000075 00A2EB40
	v_cmp_lt_u32_e64 s[40:41], v242, v65                       // 000000006018: D0C90028 000283F2
	v_add_u32_e32 v242, 64, v242                               // 000000006020: 69E5E4C0
	s_nop 0                                                    // 000000006024: BF800000
	v_cndmask_b32_e64 v118, v64, v118, s[40:41]                // 000000006028: D1000076 00A2ED40
	v_cmp_lt_u32_e64 s[40:41], v243, v65                       // 000000006030: D0C90028 000283F3
	v_add_u32_e32 v243, 64, v243                               // 000000006038: 69E7E6C0
	s_nop 0                                                    // 00000000603C: BF800000
	v_cndmask_b32_e64 v119, v64, v119, s[40:41]                // 000000006040: D1000077 00A2EF40
	v_cmp_lt_u32_e64 s[40:41], v240, v65                       // 000000006048: D0C90028 000283F0
	v_add_u32_e32 v240, 64, v240                               // 000000006050: 69E1E0C0
	s_nop 0                                                    // 000000006054: BF800000
	v_cndmask_b32_e64 v120, v64, v120, s[40:41]                // 000000006058: D1000078 00A2F140
	v_cmp_lt_u32_e64 s[40:41], v241, v65                       // 000000006060: D0C90028 000283F1
	v_add_u32_e32 v241, 64, v241                               // 000000006068: 69E3E2C0
	s_nop 0                                                    // 00000000606C: BF800000
	v_cndmask_b32_e64 v121, v64, v121, s[40:41]                // 000000006070: D1000079 00A2F340
	v_cmp_lt_u32_e64 s[40:41], v242, v65                       // 000000006078: D0C90028 000283F2
	v_add_u32_e32 v242, 64, v242                               // 000000006080: 69E5E4C0
	s_nop 0                                                    // 000000006084: BF800000
	v_cndmask_b32_e64 v122, v64, v122, s[40:41]                // 000000006088: D100007A 00A2F540
	v_cmp_lt_u32_e64 s[40:41], v243, v65                       // 000000006090: D0C90028 000283F3
	v_add_u32_e32 v243, 64, v243                               // 000000006098: 69E7E6C0
	s_nop 0                                                    // 00000000609C: BF800000
	v_cndmask_b32_e64 v123, v64, v123, s[40:41]                // 0000000060A0: D100007B 00A2F740
	v_cmp_lt_u32_e64 s[40:41], v240, v65                       // 0000000060A8: D0C90028 000283F0
	v_add_u32_e32 v240, 64, v240                               // 0000000060B0: 69E1E0C0
	s_nop 0                                                    // 0000000060B4: BF800000
	v_cndmask_b32_e64 v124, v64, v124, s[40:41]                // 0000000060B8: D100007C 00A2F940
	v_cmp_lt_u32_e64 s[40:41], v241, v65                       // 0000000060C0: D0C90028 000283F1
	v_add_u32_e32 v241, 64, v241                               // 0000000060C8: 69E3E2C0
	s_nop 0                                                    // 0000000060CC: BF800000
	v_cndmask_b32_e64 v125, v64, v125, s[40:41]                // 0000000060D0: D100007D 00A2FB40
	v_cmp_lt_u32_e64 s[40:41], v242, v65                       // 0000000060D8: D0C90028 000283F2
	v_add_u32_e32 v242, 64, v242                               // 0000000060E0: 69E5E4C0
	s_nop 0                                                    // 0000000060E4: BF800000
	v_cndmask_b32_e64 v126, v64, v126, s[40:41]                // 0000000060E8: D100007E 00A2FD40
	v_cmp_lt_u32_e64 s[40:41], v243, v65                       // 0000000060F0: D0C90028 000283F3
	v_add_u32_e32 v243, 64, v243                               // 0000000060F8: 69E7E6C0
	s_nop 0                                                    // 0000000060FC: BF800000
	v_cndmask_b32_e64 v127, v64, v127, s[40:41]                // 000000006100: D100007F 00A2FF40
	v_mov_b32_e32 v48, v112                                    // 000000006108: 7E600370
	v_max3_f32 v48, v112, v113, v48                            // 00000000610C: D1D30030 04C2E370
	v_max3_f32 v48, v114, v115, v48                            // 000000006114: D1D30030 04C2E772
	v_max3_f32 v48, v116, v117, v48                            // 00000000611C: D1D30030 04C2EB74
	v_max3_f32 v48, v118, v119, v48                            // 000000006124: D1D30030 04C2EF76
	v_max3_f32 v48, v120, v121, v48                            // 00000000612C: D1D30030 04C2F378
	v_max3_f32 v48, v122, v123, v48                            // 000000006134: D1D30030 04C2F77A
	v_max3_f32 v48, v124, v125, v48                            // 00000000613C: D1D30030 04C2FB7C
	v_max3_f32 v48, v126, v127, v48                            // 000000006144: D1D30030 04C2FF7E
	ds_write_b32 v8, v48 offset:16896                          // 00000000614C: D81A4200 00003008
	v_mul_u32_u24_dpp v64, v16, v54 row_newbcast:1 row_mask:0xf bank_mask:0xf// 000000006154: 10806CFA FF015110
	v_mul_u32_u24_dpp v65, v16, v54 row_newbcast:5 row_mask:0xf bank_mask:0xf// 00000000615C: 10826CFA FF015510
	v_mul_u32_u24_dpp v66, v16, v54 row_newbcast:9 row_mask:0xf bank_mask:0xf// 000000006164: 10846CFA FF015910
	v_mul_u32_u24_dpp v67, v16, v54 row_newbcast:13 row_mask:0xf bank_mask:0xf// 00000000616C: 10866CFA FF015D10
	v_add_u32_e32 v30, v64, v6                                 // 000000006174: 683C0D40
	v_add_u32_e32 v31, v65, v6                                 // 000000006178: 683E0D41
	v_add_u32_e32 v32, v66, v6                                 // 00000000617C: 68400D42
	v_add_u32_e32 v33, v67, v6                                 // 000000006180: 68420D43
	v_mul_f32_e32 v208, v49, v208                              // 000000006184: 0BA1A131
	v_mul_f32_e32 v209, v49, v209                              // 000000006188: 0BA3A331
	v_mul_f32_e32 v210, v49, v210                              // 00000000618C: 0BA5A531
	v_mul_f32_e32 v211, v49, v211                              // 000000006190: 0BA7A731
	v_mul_f32_e32 v212, v49, v212                              // 000000006194: 0BA9A931
	v_mul_f32_e32 v213, v49, v213                              // 000000006198: 0BABAB31
	v_mul_f32_e32 v214, v49, v214                              // 00000000619C: 0BADAD31
	v_mul_f32_e32 v215, v49, v215                              // 0000000061A0: 0BAFAF31
	s_waitcnt lgkmcnt(0)                                       // 0000000061A4: BF8CC07F
	s_barrier                                                  // 0000000061A8: BF8A0000
	ds_read_b32 v64, v7 offset:16896                           // 0000000061AC: D86C4200 40000007
	ds_read_b32 v65, v7 offset:16960                           // 0000000061B4: D86C4240 41000007
	ds_read_b32 v66, v7 offset:17024                           // 0000000061BC: D86C4280 42000007
	ds_read_b32 v67, v7 offset:17088                           // 0000000061C4: D86C42C0 43000007
	ds_read_b32 v68, v7 offset:17152                           // 0000000061CC: D86C4300 44000007
	ds_read_b32 v69, v7 offset:17216                           // 0000000061D4: D86C4340 45000007
	ds_read_b32 v70, v7 offset:17280                           // 0000000061DC: D86C4380 46000007
	ds_read_b32 v71, v7 offset:17344                           // 0000000061E4: D86C43C0 47000007
	ds_read_b32 v72, v7 offset:17408                           // 0000000061EC: D86C4400 48000007
	ds_read_b32 v73, v7 offset:17472                           // 0000000061F4: D86C4440 49000007
	ds_read_b32 v74, v7 offset:17536                           // 0000000061FC: D86C4480 4A000007
	ds_read_b32 v75, v7 offset:17600                           // 000000006204: D86C44C0 4B000007
	ds_read_b32 v76, v7 offset:17664                           // 00000000620C: D86C4500 4C000007
	ds_read_b32 v77, v7 offset:17728                           // 000000006214: D86C4540 4D000007
	ds_read_b32 v78, v7 offset:17792                           // 00000000621C: D86C4580 4E000007
	ds_read_b32 v79, v7 offset:17856                           // 000000006224: D86C45C0 4F000007
	v_cvt_f32_i32_e32 v176, v176                               // 00000000622C: 7F600BB0
	v_cvt_f32_i32_e32 v177, v177                               // 000000006230: 7F620BB1
	v_cvt_f32_i32_e32 v178, v178                               // 000000006234: 7F640BB2
	v_cvt_f32_i32_e32 v179, v179                               // 000000006238: 7F660BB3
	v_cvt_f32_i32_e32 v180, v180                               // 00000000623C: 7F680BB4
	v_cvt_f32_i32_e32 v181, v181                               // 000000006240: 7F6A0BB5
	v_cvt_f32_i32_e32 v182, v182                               // 000000006244: 7F6C0BB6
	v_cvt_f32_i32_e32 v183, v183                               // 000000006248: 7F6E0BB7
	v_mul_f32_e32 v176, v44, v176                              // 00000000624C: 0B61612C
	v_mul_f32_e32 v177, v44, v177                              // 000000006250: 0B63632C
	v_mul_f32_e32 v178, v44, v178                              // 000000006254: 0B65652C
	v_mul_f32_e32 v179, v44, v179                              // 000000006258: 0B67672C
	v_mul_f32_e32 v180, v44, v180                              // 00000000625C: 0B69692C
	v_mul_f32_e32 v181, v44, v181                              // 000000006260: 0B6B6B2C
	v_mul_f32_e32 v182, v44, v182                              // 000000006264: 0B6D6D2C
	v_mul_f32_e32 v183, v44, v183                              // 000000006268: 0B6F6F2C
	s_waitcnt lgkmcnt(0)                                       // 00000000626C: BF8CC07F
	v_max3_f32 v48, v64, v65, v48                              // 000000006270: D1D30030 04C28340
	v_max3_f32 v48, v66, v67, v48                              // 000000006278: D1D30030 04C28742
	v_max3_f32 v48, v68, v69, v48                              // 000000006280: D1D30030 04C28B44
	v_max3_f32 v48, v70, v71, v48                              // 000000006288: D1D30030 04C28F46
	v_max3_f32 v48, v72, v73, v48                              // 000000006290: D1D30030 04C29348
	v_max3_f32 v48, v74, v75, v48                              // 000000006298: D1D30030 04C2974A
	v_max3_f32 v48, v76, v77, v48                              // 0000000062A0: D1D30030 04C29B4C
	v_max3_f32 v48, v78, v79, v48                              // 0000000062A8: D1D30030 04C29F4E
	v_mov_b32_e32 v64, 0xff800000                              // 0000000062B0: 7E8002FF FF800000
	v_cmp_eq_u32_e64 s[40:41], v64, v11                        // 0000000062B8: D0CA0028 00021740
	s_nop 1                                                    // 0000000062C0: BF800001
	v_max_f32_e32 v15, v48, v11                                // 0000000062C4: 161E1730
	v_mul_f32_e32 v53, s64, v15                                // 0000000062C8: 0A6A1E40
	v_fma_f32 v112, v112, s64, -v53                            // 0000000062CC: D1CB0070 84D48170
	v_fma_f32 v113, v113, s64, -v53                            // 0000000062D4: D1CB0071 84D48171
	v_fma_f32 v114, v114, s64, -v53                            // 0000000062DC: D1CB0072 84D48172
	v_fma_f32 v115, v115, s64, -v53                            // 0000000062E4: D1CB0073 84D48173
	v_fma_f32 v116, v116, s64, -v53                            // 0000000062EC: D1CB0074 84D48174
	v_fma_f32 v117, v117, s64, -v53                            // 0000000062F4: D1CB0075 84D48175
	v_fma_f32 v118, v118, s64, -v53                            // 0000000062FC: D1CB0076 84D48176
	v_fma_f32 v119, v119, s64, -v53                            // 000000006304: D1CB0077 84D48177
	v_fma_f32 v120, v120, s64, -v53                            // 00000000630C: D1CB0078 84D48178
	v_fma_f32 v121, v121, s64, -v53                            // 000000006314: D1CB0079 84D48179
	v_fma_f32 v122, v122, s64, -v53                            // 00000000631C: D1CB007A 84D4817A
	v_fma_f32 v123, v123, s64, -v53                            // 000000006324: D1CB007B 84D4817B
	v_fma_f32 v124, v124, s64, -v53                            // 00000000632C: D1CB007C 84D4817C
	v_fma_f32 v125, v125, s64, -v53                            // 000000006334: D1CB007D 84D4817D
	v_fma_f32 v126, v126, s64, -v53                            // 00000000633C: D1CB007E 84D4817E
	v_fma_f32 v127, v127, s64, -v53                            // 000000006344: D1CB007F 84D4817F
	v_exp_f32_e32 v112, v112                                   // 00000000634C: 7EE04170
	v_exp_f32_e32 v113, v113                                   // 000000006350: 7EE24171
	v_exp_f32_e32 v114, v114                                   // 000000006354: 7EE44172
	v_exp_f32_e32 v115, v115                                   // 000000006358: 7EE64173
	v_exp_f32_e32 v116, v116                                   // 00000000635C: 7EE84174
	v_exp_f32_e32 v117, v117                                   // 000000006360: 7EEA4175
	v_exp_f32_e32 v118, v118                                   // 000000006364: 7EEC4176
	v_exp_f32_e32 v119, v119                                   // 000000006368: 7EEE4177
	v_exp_f32_e32 v120, v120                                   // 00000000636C: 7EF04178
	v_exp_f32_e32 v121, v121                                   // 000000006370: 7EF24179
	v_exp_f32_e32 v122, v122                                   // 000000006374: 7EF4417A
	v_exp_f32_e32 v123, v123                                   // 000000006378: 7EF6417B
	v_exp_f32_e32 v124, v124                                   // 00000000637C: 7EF8417C
	v_exp_f32_e32 v125, v125                                   // 000000006380: 7EFA417D
	v_exp_f32_e32 v126, v126                                   // 000000006384: 7EFC417E
	v_exp_f32_e32 v127, v127                                   // 000000006388: 7EFE417F
	v_mul_f32_dpp v240, v252, v112 quad_perm:[0,0,0,0] row_mask:0xf bank_mask:0xf// 00000000638C: 0BE0E0FA FF0000FC
	v_mul_f32_dpp v241, v252, v113 quad_perm:[1,1,1,1] row_mask:0xf bank_mask:0xf// 000000006394: 0BE2E2FA FF0055FC
	v_mul_f32_dpp v242, v252, v114 quad_perm:[2,2,2,2] row_mask:0xf bank_mask:0xf// 00000000639C: 0BE4E4FA FF00AAFC
	v_mul_f32_dpp v243, v252, v115 quad_perm:[3,3,3,3] row_mask:0xf bank_mask:0xf// 0000000063A4: 0BE6E6FA FF00FFFC
	v_mul_f32_dpp v244, v253, v116 quad_perm:[0,0,0,0] row_mask:0xf bank_mask:0xf// 0000000063AC: 0BE8E8FA FF0000FD
	v_mul_f32_dpp v245, v253, v117 quad_perm:[1,1,1,1] row_mask:0xf bank_mask:0xf// 0000000063B4: 0BEAEAFA FF0055FD
	v_mul_f32_dpp v246, v253, v118 quad_perm:[2,2,2,2] row_mask:0xf bank_mask:0xf// 0000000063BC: 0BECECFA FF00AAFD
	v_mul_f32_dpp v247, v253, v119 quad_perm:[3,3,3,3] row_mask:0xf bank_mask:0xf// 0000000063C4: 0BEEEEFA FF00FFFD
	v_mul_f32_dpp v248, v254, v120 quad_perm:[0,0,0,0] row_mask:0xf bank_mask:0xf// 0000000063CC: 0BF0F0FA FF0000FE
	v_mul_f32_dpp v249, v254, v121 quad_perm:[1,1,1,1] row_mask:0xf bank_mask:0xf// 0000000063D4: 0BF2F2FA FF0055FE
	v_mul_f32_dpp v250, v254, v122 quad_perm:[2,2,2,2] row_mask:0xf bank_mask:0xf// 0000000063DC: 0BF4F4FA FF00AAFE
	v_mul_f32_dpp v251, v254, v123 quad_perm:[3,3,3,3] row_mask:0xf bank_mask:0xf// 0000000063E4: 0BF6F6FA FF00FFFE
	v_mul_f32_dpp v252, v255, v124 quad_perm:[0,0,0,0] row_mask:0xf bank_mask:0xf// 0000000063EC: 0BF8F8FA FF0000FF
	v_mul_f32_dpp v253, v255, v125 quad_perm:[1,1,1,1] row_mask:0xf bank_mask:0xf// 0000000063F4: 0BFAFAFA FF0055FF
	v_mul_f32_dpp v254, v255, v126 quad_perm:[2,2,2,2] row_mask:0xf bank_mask:0xf// 0000000063FC: 0BFCFCFA FF00AAFF
	v_mul_f32_dpp v255, v255, v127 quad_perm:[3,3,3,3] row_mask:0xf bank_mask:0xf// 000000006404: 0BFEFEFA FF00FFFF
	v_mov_b32_e32 v48, 0x358637bd                              // 00000000640C: 7E6002FF 358637BD
	v_max3_f32 v48, |v240|, |v241|, v48                        // 000000006414: D1D30330 04C3E3F0
	v_max3_f32 v48, |v242|, |v243|, v48                        // 00000000641C: D1D30330 04C3E7F2
	v_max3_f32 v48, |v244|, |v245|, v48                        // 000000006424: D1D30330 04C3EBF4
	v_max3_f32 v48, |v246|, |v247|, v48                        // 00000000642C: D1D30330 04C3EFF6
	v_max3_f32 v48, |v248|, |v249|, v48                        // 000000006434: D1D30330 04C3F3F8
	v_max3_f32 v48, |v250|, |v251|, v48                        // 00000000643C: D1D30330 04C3F7FA
	v_max3_f32 v48, |v252|, |v253|, v48                        // 000000006444: D1D30330 04C3FBFC
	v_max3_f32 v48, |v254|, |v255|, v48                        // 00000000644C: D1D30330 04C3FFFE
	ds_write_b32 v8, v48 offset:20992                          // 000000006454: D81A5200 00003008
	v_sub_f32_e32 v49, v11, v15                                // 00000000645C: 04621F0B
	v_cndmask_b32_e64 v49, v49, 0, s[40:41]                    // 000000006460: D1000031 00A10131
	v_mov_b32_e32 v11, v15                                     // 000000006468: 7E16030F
	v_mul_f32_e32 v49, s64, v49                                // 00000000646C: 0A626240
	v_exp_f32_e32 v49, v49                                     // 000000006470: 7E624131
	s_waitcnt lgkmcnt(0)                                       // 000000006474: BF8CC07F
	s_barrier                                                  // 000000006478: BF8A0000
	ds_read_b32 v64, v7 offset:20992                           // 00000000647C: D86C5200 40000007
	ds_read_b32 v65, v7 offset:21056                           // 000000006484: D86C5240 41000007
	ds_read_b32 v66, v7 offset:21120                           // 00000000648C: D86C5280 42000007
	ds_read_b32 v67, v7 offset:21184                           // 000000006494: D86C52C0 43000007
	ds_read_b32 v68, v7 offset:21248                           // 00000000649C: D86C5300 44000007
	ds_read_b32 v69, v7 offset:21312                           // 0000000064A4: D86C5340 45000007
	ds_read_b32 v70, v7 offset:21376                           // 0000000064AC: D86C5380 46000007
	ds_read_b32 v71, v7 offset:21440                           // 0000000064B4: D86C53C0 47000007
	ds_read_b32 v72, v7 offset:21504                           // 0000000064BC: D86C5400 48000007
	ds_read_b32 v73, v7 offset:21568                           // 0000000064C4: D86C5440 49000007
	ds_read_b32 v74, v7 offset:21632                           // 0000000064CC: D86C5480 4A000007
	ds_read_b32 v75, v7 offset:21696                           // 0000000064D4: D86C54C0 4B000007
	ds_read_b32 v76, v7 offset:21760                           // 0000000064DC: D86C5500 4C000007
	ds_read_b32 v77, v7 offset:21824                           // 0000000064E4: D86C5540 4D000007
	ds_read_b32 v78, v7 offset:21888                           // 0000000064EC: D86C5580 4E000007
	ds_read_b32 v79, v7 offset:21952                           // 0000000064F4: D86C55C0 4F000007
	v_mul_f32_e32 v38, v49, v38                                // 0000000064FC: 0A4C4D31
	v_mov_b32_e32 v15, v112                                    // 000000006500: 7E1E0370
	v_add_f32_e32 v15, v113, v15                               // 000000006504: 021E1F71
	v_add_f32_e32 v15, v114, v15                               // 000000006508: 021E1F72
	v_add_f32_e32 v15, v115, v15                               // 00000000650C: 021E1F73
	v_add_f32_e32 v15, v116, v15                               // 000000006510: 021E1F74
	v_add_f32_e32 v15, v117, v15                               // 000000006514: 021E1F75
	v_add_f32_e32 v15, v118, v15                               // 000000006518: 021E1F76
	v_add_f32_e32 v15, v119, v15                               // 00000000651C: 021E1F77
	v_add_f32_e32 v15, v120, v15                               // 000000006520: 021E1F78
	v_add_f32_e32 v15, v121, v15                               // 000000006524: 021E1F79
	v_add_f32_e32 v15, v122, v15                               // 000000006528: 021E1F7A
	v_add_f32_e32 v15, v123, v15                               // 00000000652C: 021E1F7B
	v_add_f32_e32 v15, v124, v15                               // 000000006530: 021E1F7C
	v_add_f32_e32 v15, v125, v15                               // 000000006534: 021E1F7D
	v_add_f32_e32 v15, v126, v15                               // 000000006538: 021E1F7E
	v_add_f32_e32 v15, v127, v15                               // 00000000653C: 021E1F7F
	v_add_f32_e32 v38, v15, v38                                // 000000006540: 024C4D0F
	s_waitcnt lgkmcnt(0)                                       // 000000006544: BF8CC07F
	v_max3_f32 v48, |v64|, |v65|, v48                          // 000000006548: D1D30330 04C28340
	v_max3_f32 v48, |v66|, |v67|, v48                          // 000000006550: D1D30330 04C28742
	v_max3_f32 v48, |v68|, |v69|, v48                          // 000000006558: D1D30330 04C28B44
	v_max3_f32 v48, |v70|, |v71|, v48                          // 000000006560: D1D30330 04C28F46
	v_max3_f32 v48, |v72|, |v73|, v48                          // 000000006568: D1D30330 04C29348
	v_max3_f32 v48, |v74|, |v75|, v48                          // 000000006570: D1D30330 04C2974A
	v_max3_f32 v48, |v76|, |v77|, v48                          // 000000006578: D1D30330 04C29B4C
	v_max3_f32 v48, |v78|, |v79|, v48                          // 000000006580: D1D30330 04C29F4E
	s_nop 2                                                    // 000000006588: BF800002
	v_rcp_f32_e32 v48, v48                                     // 00000000658C: 7E604530
	s_nop 1                                                    // 000000006590: BF800001
	v_mul_f32_e32 v48, 0x42fe0000, v48                         // 000000006594: 0A6060FF 42FE0000
	v_mul_f32_e32 v112, v48, v240                              // 00000000659C: 0AE1E130
	v_mul_f32_e32 v113, v48, v241                              // 0000000065A0: 0AE3E330
	v_mul_f32_e32 v114, v48, v242                              // 0000000065A4: 0AE5E530
	v_mul_f32_e32 v115, v48, v243                              // 0000000065A8: 0AE7E730
	v_mul_f32_e32 v116, v48, v244                              // 0000000065AC: 0AE9E930
	v_mul_f32_e32 v117, v48, v245                              // 0000000065B0: 0AEBEB30
	v_mul_f32_e32 v118, v48, v246                              // 0000000065B4: 0AEDED30
	v_mul_f32_e32 v119, v48, v247                              // 0000000065B8: 0AEFEF30
	v_mul_f32_e32 v120, v48, v248                              // 0000000065BC: 0AF1F130
	v_mul_f32_e32 v121, v48, v249                              // 0000000065C0: 0AF3F330
	v_mul_f32_e32 v122, v48, v250                              // 0000000065C4: 0AF5F530
	v_mul_f32_e32 v123, v48, v251                              // 0000000065C8: 0AF7F730
	v_mul_f32_e32 v124, v48, v252                              // 0000000065CC: 0AF9F930
	v_mul_f32_e32 v125, v48, v253                              // 0000000065D0: 0AFBFB30
	v_mul_f32_e32 v126, v48, v254                              // 0000000065D4: 0AFDFD30
	v_mul_f32_e32 v127, v48, v255                              // 0000000065D8: 0AFFFF30
	v_cvt_i32_f32_e32 v112, v112                               // 0000000065DC: 7EE01170
	v_cvt_i32_f32_e32 v113, v113                               // 0000000065E0: 7EE21171
	v_cvt_i32_f32_e32 v114, v114                               // 0000000065E4: 7EE41172
	v_cvt_i32_f32_e32 v115, v115                               // 0000000065E8: 7EE61173
	v_cvt_i32_f32_e32 v116, v116                               // 0000000065EC: 7EE81174
	v_cvt_i32_f32_e32 v117, v117                               // 0000000065F0: 7EEA1175
	v_cvt_i32_f32_e32 v118, v118                               // 0000000065F4: 7EEC1176
	v_cvt_i32_f32_e32 v119, v119                               // 0000000065F8: 7EEE1177
	v_cvt_i32_f32_e32 v120, v120                               // 0000000065FC: 7EF01178
	v_cvt_i32_f32_e32 v121, v121                               // 000000006600: 7EF21179
	v_cvt_i32_f32_e32 v122, v122                               // 000000006604: 7EF4117A
	v_cvt_i32_f32_e32 v123, v123                               // 000000006608: 7EF6117B
	v_cvt_i32_f32_e32 v124, v124                               // 00000000660C: 7EF8117C
	v_cvt_i32_f32_e32 v125, v125                               // 000000006610: 7EFA117D
	v_cvt_i32_f32_e32 v126, v126                               // 000000006614: 7EFC117E
	v_cvt_i32_f32_e32 v127, v127                               // 000000006618: 7EFE117F
	v_perm_b32 v112, v113, v112, s53                           // 00000000661C: D1ED0070 00D6E171
	v_perm_b32 v112, v114, v112, s54                           // 000000006624: D1ED0070 00DAE172
	v_perm_b32 v112, v115, v112, s55                           // 00000000662C: D1ED0070 00DEE173
	v_perm_b32 v113, v117, v116, s53                           // 000000006634: D1ED0071 00D6E975
	v_perm_b32 v113, v118, v113, s54                           // 00000000663C: D1ED0071 00DAE376
	v_perm_b32 v113, v119, v113, s55                           // 000000006644: D1ED0071 00DEE377
	v_perm_b32 v114, v121, v120, s53                           // 00000000664C: D1ED0072 00D6F179
	v_perm_b32 v114, v122, v114, s54                           // 000000006654: D1ED0072 00DAE57A
	v_perm_b32 v114, v123, v114, s55                           // 00000000665C: D1ED0072 00DEE57B
	v_perm_b32 v115, v125, v124, s53                           // 000000006664: D1ED0073 00D6F97D
	v_perm_b32 v115, v126, v115, s54                           // 00000000666C: D1ED0073 00DAE77E
	v_perm_b32 v115, v127, v115, s55                           // 000000006674: D1ED0073 00DEE77F
	ds_write_b32 v10, v112 offset:25088                        // 00000000667C: D81A6200 0000700A
	ds_write_b32 v10, v113 offset:26112                        // 000000006684: D81A6600 0000710A
	ds_write_b32 v10, v114 offset:27136                        // 00000000668C: D81A6A00 0000720A
	ds_write_b32 v10, v115 offset:28160                        // 000000006694: D81A6E00 0000730A
	v_add_f32_e32 v208, v208, v176                             // 00000000669C: 03A161D0
	v_add_f32_e32 v209, v209, v177                             // 0000000066A0: 03A363D1
	v_add_f32_e32 v210, v210, v178                             // 0000000066A4: 03A565D2
	v_add_f32_e32 v211, v211, v179                             // 0000000066A8: 03A767D3
	v_add_f32_e32 v212, v212, v180                             // 0000000066AC: 03A969D4
	v_add_f32_e32 v213, v213, v181                             // 0000000066B0: 03AB6BD5
	v_add_f32_e32 v214, v214, v182                             // 0000000066B4: 03AD6DD6
	v_add_f32_e32 v215, v215, v183                             // 0000000066B8: 03AF6FD7
	v_rcp_f32_e32 v44, v48                                     // 0000000066BC: 7E584530
	s_waitcnt lgkmcnt(0)                                       // 0000000066C0: BF8CC07F
	s_barrier                                                  // 0000000066C4: BF8A0000
	ds_read_b64 v[112:113], v9 offset:25088                    // 0000000066C8: D8EC6200 70000009
	ds_read_b64 v[114:115], v9 offset:25216                    // 0000000066D0: D8EC6280 72000009
	ds_read_b64 v[116:117], v9 offset:26112                    // 0000000066D8: D8EC6600 74000009
	ds_read_b64 v[118:119], v9 offset:26240                    // 0000000066E0: D8EC6680 76000009
	ds_read_b64 v[120:121], v9 offset:27136                    // 0000000066E8: D8EC6A00 78000009
	ds_read_b64 v[122:123], v9 offset:27264                    // 0000000066F0: D8EC6A80 7A000009
	ds_read_b64 v[124:125], v9 offset:28160                    // 0000000066F8: D8EC6E00 7C000009
	ds_read_b64 v[126:127], v9 offset:28288                    // 000000006700: D8EC6E80 7E000009
	s_waitcnt vmcnt(0)                                         // 000000006708: BF8C0F70
	s_barrier                                                  // 00000000670C: BF8A0000
	s_waitcnt lgkmcnt(7)                                       // 000000006710: BF8CC77F
	v_mfma_i32_16x16x32_i8 v[176:179], a[96:97], v[112:113], 0 // 000000006714: D3D700B0 0A02E160
	s_waitcnt lgkmcnt(6)                                       // 00000000671C: BF8CC67F
	v_mfma_i32_16x16x32_i8 v[176:179], a[98:99], v[114:115], v[176:179]// 000000006720: D3D700B0 0EC2E562
	s_waitcnt lgkmcnt(5)                                       // 000000006728: BF8CC57F
	v_mfma_i32_16x16x32_i8 v[176:179], a[100:101], v[116:117], v[176:179]// 00000000672C: D3D700B0 0EC2E964
	s_waitcnt lgkmcnt(4)                                       // 000000006734: BF8CC47F
	v_mfma_i32_16x16x32_i8 v[176:179], a[102:103], v[118:119], v[176:179]// 000000006738: D3D700B0 0EC2ED66
	s_waitcnt lgkmcnt(3)                                       // 000000006740: BF8CC37F
	v_mfma_i32_16x16x32_i8 v[176:179], a[104:105], v[120:121], v[176:179]// 000000006744: D3D700B0 0EC2F168
	s_waitcnt lgkmcnt(2)                                       // 00000000674C: BF8CC27F
	v_mfma_i32_16x16x32_i8 v[176:179], a[106:107], v[122:123], v[176:179]// 000000006750: D3D700B0 0EC2F56A
	s_waitcnt lgkmcnt(1)                                       // 000000006758: BF8CC17F
	v_mfma_i32_16x16x32_i8 v[176:179], a[108:109], v[124:125], v[176:179]// 00000000675C: D3D700B0 0EC2F96C
	s_waitcnt lgkmcnt(0)                                       // 000000006764: BF8CC07F
	v_mfma_i32_16x16x32_i8 v[176:179], a[110:111], v[126:127], v[176:179]// 000000006768: D3D700B0 0EC2FD6E
	v_mfma_i32_16x16x32_i8 v[180:183], a[112:113], v[112:113], 0// 000000006770: D3D700B4 0A02E170
	v_mfma_i32_16x16x32_i8 v[180:183], a[114:115], v[114:115], v[180:183]// 000000006778: D3D700B4 0ED2E572
	v_mfma_i32_16x16x32_i8 v[180:183], a[116:117], v[116:117], v[180:183]// 000000006780: D3D700B4 0ED2E974
	v_mfma_i32_16x16x32_i8 v[180:183], a[118:119], v[118:119], v[180:183]// 000000006788: D3D700B4 0ED2ED76
	v_mfma_i32_16x16x32_i8 v[180:183], a[120:121], v[120:121], v[180:183]// 000000006790: D3D700B4 0ED2F178
	v_mfma_i32_16x16x32_i8 v[180:183], a[122:123], v[122:123], v[180:183]// 000000006798: D3D700B4 0ED2F57A
	v_mfma_i32_16x16x32_i8 v[180:183], a[124:125], v[124:125], v[180:183]// 0000000067A0: D3D700B4 0ED2F97C
	v_mfma_i32_16x16x32_i8 v[180:183], a[126:127], v[126:127], v[180:183]// 0000000067A8: D3D700B4 0ED2FD7E
	s_nop 4                                                    // 0000000067B0: BF800004
	s_branch label_116E                                        // 0000000067B4: BF820000

00000000000067b8 <label_116E>:
	v_mul_f32_e32 v208, v49, v208                              // 0000000067B8: 0BA1A131
	v_mul_f32_e32 v209, v49, v209                              // 0000000067BC: 0BA3A331
	v_mul_f32_e32 v210, v49, v210                              // 0000000067C0: 0BA5A531
	v_mul_f32_e32 v211, v49, v211                              // 0000000067C4: 0BA7A731
	v_mul_f32_e32 v212, v49, v212                              // 0000000067C8: 0BA9A931
	v_mul_f32_e32 v213, v49, v213                              // 0000000067CC: 0BABAB31
	v_mul_f32_e32 v214, v49, v214                              // 0000000067D0: 0BADAD31
	v_mul_f32_e32 v215, v49, v215                              // 0000000067D4: 0BAFAF31
	v_cvt_f32_i32_e32 v176, v176                               // 0000000067D8: 7F600BB0
	v_cvt_f32_i32_e32 v177, v177                               // 0000000067DC: 7F620BB1
	v_cvt_f32_i32_e32 v178, v178                               // 0000000067E0: 7F640BB2
	v_cvt_f32_i32_e32 v179, v179                               // 0000000067E4: 7F660BB3
	v_cvt_f32_i32_e32 v180, v180                               // 0000000067E8: 7F680BB4
	v_cvt_f32_i32_e32 v181, v181                               // 0000000067EC: 7F6A0BB5
	v_cvt_f32_i32_e32 v182, v182                               // 0000000067F0: 7F6C0BB6
	v_cvt_f32_i32_e32 v183, v183                               // 0000000067F4: 7F6E0BB7
	v_mul_f32_e32 v176, v44, v176                              // 0000000067F8: 0B61612C
	v_mul_f32_e32 v177, v44, v177                              // 0000000067FC: 0B63632C
	v_mul_f32_e32 v178, v44, v178                              // 000000006800: 0B65652C
	v_mul_f32_e32 v179, v44, v179                              // 000000006804: 0B67672C
	v_mul_f32_e32 v180, v44, v180                              // 000000006808: 0B69692C
	v_mul_f32_e32 v181, v44, v181                              // 00000000680C: 0B6B6B2C
	v_mul_f32_e32 v182, v44, v182                              // 000000006810: 0B6D6D2C
	v_mul_f32_e32 v183, v44, v183                              // 000000006814: 0B6F6F2C
	v_add_f32_e32 v208, v208, v176                             // 000000006818: 03A161D0
	v_add_f32_e32 v209, v209, v177                             // 00000000681C: 03A363D1
	v_add_f32_e32 v210, v210, v178                             // 000000006820: 03A565D2
	v_add_f32_e32 v211, v211, v179                             // 000000006824: 03A767D3
	v_add_f32_e32 v212, v212, v180                             // 000000006828: 03A969D4
	v_add_f32_e32 v213, v213, v181                             // 00000000682C: 03AB6BD5
	v_add_f32_e32 v214, v214, v182                             // 000000006830: 03AD6DD6
	v_add_f32_e32 v215, v215, v183                             // 000000006834: 03AF6FD7
	ds_write_b32 v8, v38 offset:16896                          // 000000006838: D81A4200 00002608
	s_waitcnt lgkmcnt(0)                                       // 000000006840: BF8CC07F
	s_barrier                                                  // 000000006844: BF8A0000
	ds_read_b32 v64, v7 offset:16896                           // 000000006848: D86C4200 40000007
	ds_read_b32 v65, v7 offset:16960                           // 000000006850: D86C4240 41000007
	ds_read_b32 v66, v7 offset:17024                           // 000000006858: D86C4280 42000007
	ds_read_b32 v67, v7 offset:17088                           // 000000006860: D86C42C0 43000007
	ds_read_b32 v68, v7 offset:17152                           // 000000006868: D86C4300 44000007
	ds_read_b32 v69, v7 offset:17216                           // 000000006870: D86C4340 45000007
	ds_read_b32 v70, v7 offset:17280                           // 000000006878: D86C4380 46000007
	ds_read_b32 v71, v7 offset:17344                           // 000000006880: D86C43C0 47000007
	ds_read_b32 v72, v7 offset:17408                           // 000000006888: D86C4400 48000007
	ds_read_b32 v73, v7 offset:17472                           // 000000006890: D86C4440 49000007
	ds_read_b32 v74, v7 offset:17536                           // 000000006898: D86C4480 4A000007
	ds_read_b32 v75, v7 offset:17600                           // 0000000068A0: D86C44C0 4B000007
	ds_read_b32 v76, v7 offset:17664                           // 0000000068A8: D86C4500 4C000007
	ds_read_b32 v77, v7 offset:17728                           // 0000000068B0: D86C4540 4D000007
	ds_read_b32 v78, v7 offset:17792                           // 0000000068B8: D86C4580 4E000007
	ds_read_b32 v79, v7 offset:17856                           // 0000000068C0: D86C45C0 4F000007
	s_waitcnt lgkmcnt(0)                                       // 0000000068C8: BF8CC07F
	v_mov_b32_e32 v38, 0                                       // 0000000068CC: 7E4C0280
	v_add_f32_e32 v38, v64, v38                                // 0000000068D0: 024C4D40
	v_add_f32_e32 v38, v65, v38                                // 0000000068D4: 024C4D41
	v_add_f32_e32 v38, v66, v38                                // 0000000068D8: 024C4D42
	v_add_f32_e32 v38, v67, v38                                // 0000000068DC: 024C4D43
	v_add_f32_e32 v38, v68, v38                                // 0000000068E0: 024C4D44
	v_add_f32_e32 v38, v69, v38                                // 0000000068E4: 024C4D45
	v_add_f32_e32 v38, v70, v38                                // 0000000068E8: 024C4D46
	v_add_f32_e32 v38, v71, v38                                // 0000000068EC: 024C4D47
	v_add_f32_e32 v38, v72, v38                                // 0000000068F0: 024C4D48
	v_add_f32_e32 v38, v73, v38                                // 0000000068F4: 024C4D49
	v_add_f32_e32 v38, v74, v38                                // 0000000068F8: 024C4D4A
	v_add_f32_e32 v38, v75, v38                                // 0000000068FC: 024C4D4B
	v_add_f32_e32 v38, v76, v38                                // 000000006900: 024C4D4C
	v_add_f32_e32 v38, v77, v38                                // 000000006904: 024C4D4D
	v_add_f32_e32 v38, v78, v38                                // 000000006908: 024C4D4E
	v_add_f32_e32 v38, v79, v38                                // 00000000690C: 024C4D4F
	s_nop 1                                                    // 000000006910: BF800001
	v_rcp_f32_e32 v38, v38                                     // 000000006914: 7E4C4526
	s_nop 1                                                    // 000000006918: BF800001
	v_mul_f32_e32 v208, v38, v208                              // 00000000691C: 0BA1A126
	v_mul_f32_e32 v209, v38, v209                              // 000000006920: 0BA3A326
	v_mul_f32_e32 v210, v38, v210                              // 000000006924: 0BA5A526
	v_mul_f32_e32 v211, v38, v211                              // 000000006928: 0BA7A726
	v_mul_f32_e32 v212, v38, v212                              // 00000000692C: 0BA9A926
	v_mul_f32_e32 v213, v38, v213                              // 000000006930: 0BABAB26
	v_mul_f32_e32 v214, v38, v214                              // 000000006934: 0BADAD26
	v_mul_f32_e32 v215, v38, v215                              // 000000006938: 0BAFAF26
	v_mov_b32_e32 v19, 0xffff0000                              // 00000000693C: 7E2602FF FFFF0000
	v_mov_b32_e32 v20, 0x7fff0000                              // 000000006944: 7E2802FF 7FFF0000
	v_mov_b32_e32 v21, 0x7fff                                  // 00000000694C: 7E2A02FF 00007FFF
	v_cmp_u_f32_e64 s[40:41], v208, v208                       // 000000006954: D0480028 0003A1D0
	v_add3_u32 v18, v208, v21, 1                               // 00000000695C: D1FF0012 02062BD0
	v_cndmask_b32_e64 v64, v18, v20, s[40:41]                  // 000000006964: D1000040 00A22912
	v_cmp_u_f32_e64 s[40:41], v209, v209                       // 00000000696C: D0480028 0003A3D1
	v_add3_u32 v18, v209, v21, 1                               // 000000006974: D1FF0012 02062BD1
	v_cndmask_b32_e64 v65, v18, v20, s[40:41]                  // 00000000697C: D1000041 00A22912
	v_perm_b32 v208, v65, v64, s52                             // 000000006984: D1ED00D0 00D28141
	v_cmp_u_f32_e64 s[40:41], v210, v210                       // 00000000698C: D0480028 0003A5D2
	v_add3_u32 v18, v210, v21, 1                               // 000000006994: D1FF0012 02062BD2
	v_cndmask_b32_e64 v64, v18, v20, s[40:41]                  // 00000000699C: D1000040 00A22912
	v_cmp_u_f32_e64 s[40:41], v211, v211                       // 0000000069A4: D0480028 0003A7D3
	v_add3_u32 v18, v211, v21, 1                               // 0000000069AC: D1FF0012 02062BD3
	v_cndmask_b32_e64 v65, v18, v20, s[40:41]                  // 0000000069B4: D1000041 00A22912
	v_perm_b32 v209, v65, v64, s52                             // 0000000069BC: D1ED00D1 00D28141
	v_cmp_u_f32_e64 s[40:41], v212, v212                       // 0000000069C4: D0480028 0003A9D4
	v_add3_u32 v18, v212, v21, 1                               // 0000000069CC: D1FF0012 02062BD4
	v_cndmask_b32_e64 v64, v18, v20, s[40:41]                  // 0000000069D4: D1000040 00A22912
	v_cmp_u_f32_e64 s[40:41], v213, v213                       // 0000000069DC: D0480028 0003ABD5
	v_add3_u32 v18, v213, v21, 1                               // 0000000069E4: D1FF0012 02062BD5
	v_cndmask_b32_e64 v65, v18, v20, s[40:41]                  // 0000000069EC: D1000041 00A22912
	v_perm_b32 v210, v65, v64, s52                             // 0000000069F4: D1ED00D2 00D28141
	v_cmp_u_f32_e64 s[40:41], v214, v214                       // 0000000069FC: D0480028 0003ADD6
	v_add3_u32 v18, v214, v21, 1                               // 000000006A04: D1FF0012 02062BD6
	v_cndmask_b32_e64 v64, v18, v20, s[40:41]                  // 000000006A0C: D1000040 00A22912
	v_cmp_u_f32_e64 s[40:41], v215, v215                       // 000000006A14: D0480028 0003AFD7
	v_add3_u32 v18, v215, v21, 1                               // 000000006A1C: D1FF0012 02062BD7
	v_cndmask_b32_e64 v65, v18, v20, s[40:41]                  // 000000006A24: D1000041 00A22912
	v_perm_b32 v211, v65, v64, s52                             // 000000006A2C: D1ED00D3 00D28141
	s_nop 1                                                    // 000000006A34: BF800001
	v_lshrrev_b32_e32 v64, 4, v0                               // 000000006A38: 20800084
	v_mul_i32_i24_e32 v68, 34, v64                             // 000000006A3C: 0C8880A2
	v_and_b32_e32 v64, 15, v0                                  // 000000006A40: 2680008F
	v_mul_i32_i24_e32 v65, 2, v64                              // 000000006A44: 0C828082
	v_add_u32_e32 v68, v65, v68                                // 000000006A48: 68888941
	s_mul_i32 s60, s7, 0x88                                    // 000000006A4C: 923CFF07 00000088
	v_add_u32_e32 v68, s60, v68                                // 000000006A54: 6888883C
	v_lshlrev_b32_e32 v68, 2, v68                              // 000000006A58: 24888882
	ds_write_b64 v68, v[208:209] offset:41472                  // 000000006A5C: D89AA200 0000D044
	ds_write_b64 v68, v[210:211] offset:43648                  // 000000006A64: D89AAA80 0000D244
	v_lshrrev_b32_e32 v64, 1, v0                               // 000000006A6C: 20800081
	v_mul_i32_i24_e32 v68, 34, v64                             // 000000006A70: 0C8880A2
	v_and_b32_e32 v65, 1, v0                                   // 000000006A74: 26820081
	v_add_u32_e32 v68, v65, v68                                // 000000006A78: 68888941
	s_mul_i32 s60, s7, 2                                       // 000000006A7C: 923C8207
	v_add_u32_e32 v68, s60, v68                                // 000000006A80: 6888883C
	v_lshlrev_b32_e32 v68, 2, v68                              // 000000006A84: 24888882
	s_waitcnt lgkmcnt(0)                                       // 000000006A88: BF8CC07F
	s_barrier                                                  // 000000006A8C: BF8A0000
	ds_read_b32 v208, v68 offset:41472                         // 000000006A90: D86CA200 D0000044
	ds_read_b32 v209, v68 offset:41504                         // 000000006A98: D86CA220 D1000044
	ds_read_b32 v210, v68 offset:41536                         // 000000006AA0: D86CA240 D2000044
	ds_read_b32 v211, v68 offset:41568                         // 000000006AA8: D86CA260 D3000044
	s_mul_i32 s60, s7, 0x100                                   // 000000006AB0: 923CFF07 00000100
	v_lshlrev_b32_e32 v64, 2, v0                               // 000000006AB8: 24800082
	v_add_u32_e64 v64, v64, s60                                // 000000006ABC: D1340040 00007940
	s_waitcnt lgkmcnt(0)                                       // 000000006AC4: BF8CC07F
	buffer_store_dword v208, v64, s[8:11], 0 offen             // 000000006AC8: E0701000 8002D040
	buffer_store_dword v209, v64, s[8:11], 0 offen offset:1024 // 000000006AD0: E0701400 8002D140
	buffer_store_dword v210, v64, s[8:11], 0 offen offset:2048 // 000000006AD8: E0701800 8002D240
	buffer_store_dword v211, v64, s[8:11], 0 offen offset:3072 // 000000006AE0: E0701C00 8002D340
	s_add_u32 s8, s75, s8                                      // 000000006AE8: 8008084B
	s_addc_u32 s9, 0, s9                                       // 000000006AEC: 82090980
	s_branch label_32FF                                        // 000000006AF0: BF8220C2

0000000000006af4 <label_123D>:
	s_mul_i32 s60, s3, s65                                     // 000000006AF4: 923C4103
	s_mul_i32 s60, s60, 4                                      // 000000006AF8: 923C843C
	s_add_u32 s24, s60, s24                                    // 000000006AFC: 8018183C
	s_addc_u32 s25, 0, s25                                     // 000000006B00: 82191980
	s_mov_b32 s56, 64                                          // 000000006B04: BEB800C0
	s_add_u32 s73, s72, 15                                     // 000000006B08: 80498F48
	s_lshr_b32 s73, s73, 4                                     // 000000006B0C: 8F498449
	s_mul_i32 s60, s73, 4                                      // 000000006B10: 923C8449
	s_mov_b32 s26, s60                                         // 000000006B14: BE9A003C
	v_and_b32_e32 v65, 3, v0                                   // 000000006B18: 26820083
	v_cmp_eq_u32_e64 s[60:61], 0, v65                          // 000000006B1C: D0CA003C 00028280
	v_and_b32_e32 v64, 12, v0                                  // 000000006B24: 2680008C
	v_add_u32_e32 v1, s7, v64                                  // 000000006B28: 68028007
	v_cndmask_b32_e64 v1, 0, v1, s[60:61]                      // 000000006B2C: D1000001 00F20280
	v_and_b32_e32 v65, 3, v0                                   // 000000006B34: 26820083
	v_cmp_eq_u32_e64 s[60:61], 1, v65                          // 000000006B38: D0CA003C 00028281
	v_lshrrev_b32_e32 v64, 4, v0                               // 000000006B40: 20800084
	v_and_b32_e32 v65, 12, v0                                  // 000000006B44: 2682008C
	v_add_u32_e32 v64, v65, v64                                // 000000006B48: 68808141
	v_cndmask_b32_e64 v64, 0, v64, s[60:61]                    // 000000006B4C: D1000040 00F28080
	v_add_u32_e32 v1, v1, v64                                  // 000000006B54: 68028101
	v_lshlrev_b32_e32 v1, 2, v1                                // 000000006B58: 24020282
	buffer_load_dword v16, v1, s[24:27], 0 offen               // 000000006B5C: E0501000 80061001
	v_add_u32_e32 v1, s56, v1                                  // 000000006B64: 68020238
	buffer_load_dword v17, v1, s[24:27], 0 offen               // 000000006B68: E0501000 80061101
	s_cmp_le_u32 s73, 32                                       // 000000006B70: BF0BA049
	s_cselect_b32 s56, 0, s56                                  // 000000006B74: 85383880
	s_mul_i32 s60, s2, s67                                     // 000000006B78: 923C4302
	s_mul_i32 s61, s84, s74                                    // 000000006B7C: 923D4A54
	s_add_u32 s60, s60, s61                                    // 000000006B80: 803C3D3C
	s_add_u32 s12, s60, s12                                    // 000000006B84: 800C0C3C
	s_addc_u32 s13, 0, s13                                     // 000000006B88: 820D0D80
	s_mul_i32 s60, s7, 0x108                                   // 000000006B8C: 923CFF07 00000108
	s_add_u32 m0, 0, s60                                       // 000000006B94: 807C3C80
	s_mul_i32 s60, s7, 0x100                                   // 000000006B98: 923CFF07 00000100
	v_lshlrev_b32_e32 v64, 2, v0                               // 000000006BA0: 24800082
	v_add_u32_e64 v64, v64, s60                                // 000000006BA4: D1340040 00007940
	v_add_u32_e32 v65, 0x400, v64                              // 000000006BAC: 688280FF 00000400
	v_add_u32_e32 v66, 0x800, v64                              // 000000006BB4: 688480FF 00000800
	v_add_u32_e32 v67, 0xc00, v64                              // 000000006BBC: 688680FF 00000C00
	buffer_load_dword v64, s[12:15], 0 offen lds               // 000000006BC4: E0511000 80030040
	s_mul_i32 s60, 4, 0x108                                    // 000000006BCC: 923CFF84 00000108
	s_add_u32 m0, m0, s60                                      // 000000006BD4: 807C3C7C
	buffer_load_dword v65, s[12:15], 0 offen lds               // 000000006BD8: E0511000 80030041
	s_mul_i32 s60, 4, 0x108                                    // 000000006BE0: 923CFF84 00000108
	s_add_u32 m0, m0, s60                                      // 000000006BE8: 807C3C7C
	buffer_load_dword v66, s[12:15], 0 offen lds               // 000000006BEC: E0511000 80030042
	s_mul_i32 s60, 4, 0x108                                    // 000000006BF4: 923CFF84 00000108
	s_add_u32 m0, m0, s60                                      // 000000006BFC: 807C3C7C
	buffer_load_dword v67, s[12:15], 0 offen lds               // 000000006C00: E0511000 80030043
	s_mul_i32 s60, 4, 0x108                                    // 000000006C08: 923CFF84 00000108
	s_add_u32 m0, m0, s60                                      // 000000006C10: 807C3C7C
	s_add_u32 s12, s74, s12                                    // 000000006C14: 800C0C4A
	s_addc_u32 s13, 0, s13                                     // 000000006C18: 820D0D80
	buffer_load_dword v64, s[12:15], 0 offen lds               // 000000006C1C: E0511000 80030040
	s_mul_i32 s60, 4, 0x108                                    // 000000006C24: 923CFF84 00000108
	s_add_u32 m0, m0, s60                                      // 000000006C2C: 807C3C7C
	buffer_load_dword v65, s[12:15], 0 offen lds               // 000000006C30: E0511000 80030041
	s_mul_i32 s60, 4, 0x108                                    // 000000006C38: 923CFF84 00000108
	s_add_u32 m0, m0, s60                                      // 000000006C40: 807C3C7C
	buffer_load_dword v66, s[12:15], 0 offen lds               // 000000006C44: E0511000 80030042
	s_mul_i32 s60, 4, 0x108                                    // 000000006C4C: 923CFF84 00000108
	s_add_u32 m0, m0, s60                                      // 000000006C54: 807C3C7C
	buffer_load_dword v67, s[12:15], 0 offen lds               // 000000006C58: E0511000 80030043
	s_mul_i32 s60, 4, 0x108                                    // 000000006C60: 923CFF84 00000108
	s_add_u32 m0, m0, s60                                      // 000000006C68: 807C3C7C
	s_add_u32 s12, s74, s12                                    // 000000006C6C: 800C0C4A
	s_addc_u32 s13, 0, s13                                     // 000000006C70: 820D0D80
	v_lshrrev_b32_e32 v64, 4, v0                               // 000000006C74: 20800084
	v_lshlrev_b32_e32 v64, 2, v64                              // 000000006C78: 24808082
	v_and_b32_e32 v65, 3, v0                                   // 000000006C7C: 26820083
	v_add_u32_e32 v64, v65, v64                                // 000000006C80: 68808141
	v_lshlrev_b32_e32 v59, 2, v64                              // 000000006C84: 24768082
	v_mov_b32_e32 v60, v59                                     // 000000006C88: 7E78033B
	s_mul_i32 s60, s2, 64                                      // 000000006C8C: 923CC002
	s_add_u32 s32, s60, s32                                    // 000000006C90: 8020203C
	s_addc_u32 s33, 0, s33                                     // 000000006C94: 82212180
	s_add_u32 s36, s60, s36                                    // 000000006C98: 8024243C
	s_addc_u32 s37, 0, s37                                     // 000000006C9C: 82252580
	s_mul_i32 s60, s2, s76                                     // 000000006CA0: 923C4C02
	s_mul_i32 s61, s84, s75                                    // 000000006CA4: 923D4B54
	s_add_u32 s60, s60, s61                                    // 000000006CA8: 803C3D3C
	s_add_u32 s8, s60, s8                                      // 000000006CAC: 8008083C
	s_addc_u32 s9, 0, s9                                       // 000000006CB0: 82090980
	s_mov_b32 s70, 0                                           // 000000006CB4: BEC60080
	s_and_b32 s71, s72, 0xffffff00                             // 000000006CB8: 8647FF48 FFFFFF00
	s_mov_b32 s42, 0xff00ff00                                  // 000000006CC0: BEAA00FF FF00FF00
	s_mov_b32 s43, 0xff00ff00                                  // 000000006CC8: BEAB00FF FF00FF00
	s_mov_b32 s44, 0xf0f0f0f0                                  // 000000006CD0: BEAC00FF F0F0F0F0
	s_mov_b32 s45, 0xf0f0f0f0                                  // 000000006CD8: BEAD00FF F0F0F0F0
	s_mov_b32 s78, 0xff00ff                                    // 000000006CE0: BECE00FF 00FF00FF
	s_mov_b32 s79, 0xff00ff                                    // 000000006CE8: BECF00FF 00FF00FF
	v_mul_i32_i24_e64 v63, 64, s66                             // 000000006CF0: D106003F 000084C0
	v_mov_b32_e32 v54, s68                                     // 000000006CF8: 7E6C0244
	s_mov_b32 s52, 0x7060302                                   // 000000006CFC: BEB400FF 07060302
	s_mov_b32 s53, 0x400                                       // 000000006D04: BEB500FF 00000400
	s_mov_b32 s54, 0x40100                                     // 000000006D0C: BEB600FF 00040100
	s_mov_b32 s55, 0x4020100                                   // 000000006D14: BEB700FF 04020100
	s_mov_b32 s6, 0x3fb8aa3b                                   // 000000006D1C: BE8600FF 3FB8AA3B
	v_mov_b32_e32 v11, 0xff800000                              // 000000006D24: 7E1602FF FF800000
	v_mov_b32_e32 v12, 0xff800000                              // 000000006D2C: 7E1802FF FF800000
	v_mov_b32_e32 v49, 0                                       // 000000006D34: 7E620280
	v_mov_b32_e32 v50, 0                                       // 000000006D38: 7E640280
	v_mov_b32_e32 v38, 0                                       // 000000006D3C: 7E4C0280
	v_mov_b32_e32 v39, 0                                       // 000000006D40: 7E4E0280
	v_mov_b32_e32 v44, 0                                       // 000000006D44: 7E580280
	v_mov_b32_e32 v45, 0                                       // 000000006D48: 7E5A0280
	v_add_u32_e32 v1, s56, v1                                  // 000000006D4C: 68020238
	v_and_b32_e32 v7, 15, v0                                   // 000000006D50: 260E008F
	v_lshlrev_b32_e32 v7, 2, v7                                // 000000006D54: 240E0E82
	v_lshlrev_b32_e32 v8, 2, v0                                // 000000006D58: 24100082
	s_mul_i32 s60, 0x100, s7                                   // 000000006D5C: 923C07FF 00000100
	v_add_u32_e32 v8, s60, v8                                  // 000000006D64: 6810103C
	v_lshrrev_b32_e32 v64, 4, v0                               // 000000006D68: 20800084
	v_lshlrev_b32_e32 v65, 6, v64                              // 000000006D6C: 24828086
	v_and_b32_e32 v64, 15, v0                                  // 000000006D70: 2680008F
	v_lshlrev_b32_e32 v64, 1, v64                              // 000000006D74: 24808081
	v_add_u32_e32 v65, v64, v65                                // 000000006D78: 68828340
	v_lshlrev_b32_e32 v9, 2, v65                               // 000000006D7C: 24128282
	v_lshrrev_b32_e32 v64, 5, v0                               // 000000006D80: 20800085
	v_lshlrev_b32_e32 v65, 5, v64                              // 000000006D84: 24828085
	v_and_b32_e32 v64, 31, v0                                  // 000000006D88: 2680009F
	v_lshrrev_b32_e32 v66, 4, v64                              // 000000006D8C: 20848084
	v_add_u32_e32 v65, v66, v65                                // 000000006D90: 68828342
	v_and_b32_e32 v64, 15, v0                                  // 000000006D94: 2680008F
	v_lshlrev_b32_e32 v64, 1, v64                              // 000000006D98: 24808081
	v_add_u32_e32 v65, v64, v65                                // 000000006D9C: 68828340
	v_lshlrev_b32_e32 v64, 2, v65                              // 000000006DA0: 24808282
	s_mul_i32 s60, 0x100, s7                                   // 000000006DA4: 923C07FF 00000100
	v_add_u32_e64 v10, v64, s60                                // 000000006DAC: D134000A 00007940
	v_lshlrev_b32_e32 v5, 4, v0                                // 000000006DB4: 240A0084
	s_mul_i32 s60, s2, s69                                     // 000000006DB8: 923C4502
	s_add_u32 s16, s60, s16                                    // 000000006DBC: 8010103C
	s_addc_u32 s17, 0, s17                                     // 000000006DC0: 82111180
	v_and_b32_e32 v64, 15, v0                                  // 000000006DC4: 2680008F
	v_lshlrev_b32_e32 v6, 4, v64                               // 000000006DC8: 240C8084
	s_mul_i32 s61, s2, s69                                     // 000000006DCC: 923D4502
	s_mul_i32 s60, s7, 0x100                                   // 000000006DD0: 923CFF07 00000100
	s_add_u32 s60, s60, s61                                    // 000000006DD8: 803C3D3C
	s_add_u32 s20, s60, s20                                    // 000000006DDC: 8014143C
	s_addc_u32 s21, 0, s21                                     // 000000006DE0: 82151580
	s_waitcnt vmcnt(4)                                         // 000000006DE4: BF8C0F74
	v_mul_u32_u24_dpp v64, v16, v54 row_newbcast:0 row_mask:0xf bank_mask:0xf// 000000006DE8: 10806CFA FF015010
	v_mul_u32_u24_dpp v65, v16, v54 row_newbcast:4 row_mask:0xf bank_mask:0xf// 000000006DF0: 10826CFA FF015410
	v_mul_u32_u24_dpp v66, v16, v54 row_newbcast:8 row_mask:0xf bank_mask:0xf// 000000006DF8: 10846CFA FF015810
	v_mul_u32_u24_dpp v67, v16, v54 row_newbcast:12 row_mask:0xf bank_mask:0xf// 000000006E00: 10866CFA FF015C10
	v_add_u32_e32 v22, v64, v5                                 // 000000006E08: 682C0B40
	v_add_u32_e32 v23, v65, v5                                 // 000000006E0C: 682E0B41
	v_add_u32_e32 v24, v66, v5                                 // 000000006E10: 68300B42
	v_add_u32_e32 v25, v67, v5                                 // 000000006E14: 68320B43
	v_mul_u32_u24_dpp v64, v16, v54 row_newbcast:1 row_mask:0xf bank_mask:0xf// 000000006E18: 10806CFA FF015110
	v_mul_u32_u24_dpp v65, v16, v54 row_newbcast:5 row_mask:0xf bank_mask:0xf// 000000006E20: 10826CFA FF015510
	v_mul_u32_u24_dpp v66, v16, v54 row_newbcast:9 row_mask:0xf bank_mask:0xf// 000000006E28: 10846CFA FF015910
	v_mul_u32_u24_dpp v67, v16, v54 row_newbcast:13 row_mask:0xf bank_mask:0xf// 000000006E30: 10866CFA FF015D10
	v_add_u32_e32 v30, v64, v6                                 // 000000006E38: 683C0D40
	v_add_u32_e32 v31, v65, v6                                 // 000000006E3C: 683E0D41
	v_add_u32_e32 v32, v66, v6                                 // 000000006E40: 68400D42
	v_add_u32_e32 v33, v67, v6                                 // 000000006E44: 68420D43
	v_mul_u32_u24_dpp v64, v16, v63 quad_perm:[0,0,0,0] row_mask:0xf bank_mask:0xf// 000000006E48: 10807EFA FF000010
	v_add_u32_e32 v2, v64, v59                                 // 000000006E50: 68047740
	v_mul_u32_u24_dpp v64, v16, v63 quad_perm:[0,0,0,0] row_mask:0xf bank_mask:0xf// 000000006E54: 10807EFA FF000010
	v_add_u32_e32 v55, v64, v60                                // 000000006E5C: 686E7940
	buffer_load_dword v42, v2, s[32:35], 0 offen               // 000000006E60: E0501000 80082A02
	buffer_load_dwordx4 a[0:3], v22, s[16:19], 0 offen         // 000000006E68: E05C1000 80840016
	buffer_load_dwordx4 a[4:7], v22, s[16:19], 0 offen offset:1024// 000000006E70: E05C1400 80840416
	buffer_load_dwordx4 a[8:11], v23, s[16:19], 0 offen        // 000000006E78: E05C1000 80840817
	buffer_load_dwordx4 a[12:15], v23, s[16:19], 0 offen offset:1024// 000000006E80: E05C1400 80840C17
	buffer_load_dwordx4 a[16:19], v24, s[16:19], 0 offen       // 000000006E88: E05C1000 80841018
	buffer_load_dwordx4 a[20:23], v24, s[16:19], 0 offen offset:1024// 000000006E90: E05C1400 80841418
	buffer_load_dwordx4 a[24:27], v25, s[16:19], 0 offen       // 000000006E98: E05C1000 80841819
	buffer_load_dwordx4 a[28:31], v25, s[16:19], 0 offen offset:1024// 000000006EA0: E05C1400 80841C19
	buffer_load_dword v57, v55, s[36:39], 0 offen              // 000000006EA8: E0501000 80093937
	buffer_load_dwordx4 a[64:67], v30, s[20:23], 0 offen       // 000000006EB0: E05C1000 8085401E
	buffer_load_dwordx4 a[68:71], v31, s[20:23], 0 offen       // 000000006EB8: E05C1000 8085441F
	buffer_load_dwordx4 a[72:75], v32, s[20:23], 0 offen       // 000000006EC0: E05C1000 80854820
	buffer_load_dwordx4 a[76:79], v33, s[20:23], 0 offen       // 000000006EC8: E05C1000 80854C21
	buffer_load_dwordx4 a[80:83], v30, s[20:23], 0 offen offset:1024// 000000006ED0: E05C1400 8085501E
	buffer_load_dwordx4 a[84:87], v31, s[20:23], 0 offen offset:1024// 000000006ED8: E05C1400 8085541F
	buffer_load_dwordx4 a[88:91], v32, s[20:23], 0 offen offset:1024// 000000006EE0: E05C1400 80855820
	buffer_load_dwordx4 a[92:95], v33, s[20:23], 0 offen offset:1024// 000000006EE8: E05C1400 80855C21
	v_lshrrev_b32_e32 v64, 4, v0                               // 000000006EF0: 20800084
	v_lshlrev_b32_e32 v65, 1, v64                              // 000000006EF4: 24828081
	v_and_b32_e32 v64, 15, v0                                  // 000000006EF8: 2680008F
	v_mul_i32_i24_e32 v64, 0x42, v64                           // 000000006EFC: 0C8080FF 00000042
	v_add_u32_e32 v65, v64, v65                                // 000000006F04: 68828340
	v_lshlrev_b32_e32 v4, 2, v65                               // 000000006F08: 24088282
	s_mul_i32 s60, s7, 32                                      // 000000006F0C: 923CA007
	v_add_u32_e32 v4, s60, v4                                  // 000000006F10: 6808083C
	s_waitcnt vmcnt(16) lgkmcnt(0)                             // 000000006F14: BF8C4070
	s_barrier                                                  // 000000006F18: BF8A0000
	ds_read_b64 v[80:81], v4                                   // 000000006F1C: D8EC0000 50000004
	ds_read_b64 v[84:85], v4 offset:128                        // 000000006F24: D8EC0080 54000004
	s_waitcnt lgkmcnt(0)                                       // 000000006F2C: BF8CC07F
	v_and_b32_e32 v83, 0xffff0000, v81                         // 000000006F30: 26A6A2FF FFFF0000
	v_lshlrev_b32_e32 v82, 16, v81                             // 000000006F38: 24A4A290
	v_and_b32_e32 v81, 0xffff0000, v80                         // 000000006F3C: 26A2A0FF FFFF0000
	v_lshlrev_b32_e32 v80, 16, v80                             // 000000006F44: 24A0A090
	v_and_b32_e32 v87, 0xffff0000, v85                         // 000000006F48: 26AEAAFF FFFF0000
	v_lshlrev_b32_e32 v86, 16, v85                             // 000000006F50: 24ACAA90
	v_and_b32_e32 v85, 0xffff0000, v84                         // 000000006F54: 26AAA8FF FFFF0000
	v_lshlrev_b32_e32 v84, 16, v84                             // 000000006F5C: 24A8A890
	v_mov_b32_e32 v48, 0x358637bd                              // 000000006F60: 7E6002FF 358637BD
	v_max3_f32 v48, |v80|, |v81|, v48                          // 000000006F68: D1D30330 04C2A350
	v_max3_f32 v48, |v82|, |v83|, v48                          // 000000006F70: D1D30330 04C2A752
	v_max3_f32 v48, |v84|, |v85|, v48                          // 000000006F78: D1D30330 04C2AB54
	v_max3_f32 v48, |v86|, |v87|, v48                          // 000000006F80: D1D30330 04C2AF56
	ds_write_b32 v8, v48 offset:16896                          // 000000006F88: D81A4200 00003008
	s_waitcnt lgkmcnt(0)                                       // 000000006F90: BF8CC07F
	s_barrier                                                  // 000000006F94: BF8A0000
	ds_read_b32 v64, v7 offset:16896                           // 000000006F98: D86C4200 40000007
	ds_read_b32 v65, v7 offset:16960                           // 000000006FA0: D86C4240 41000007
	ds_read_b32 v66, v7 offset:17024                           // 000000006FA8: D86C4280 42000007
	ds_read_b32 v67, v7 offset:17088                           // 000000006FB0: D86C42C0 43000007
	ds_read_b32 v68, v7 offset:17152                           // 000000006FB8: D86C4300 44000007
	ds_read_b32 v69, v7 offset:17216                           // 000000006FC0: D86C4340 45000007
	ds_read_b32 v70, v7 offset:17280                           // 000000006FC8: D86C4380 46000007
	ds_read_b32 v71, v7 offset:17344                           // 000000006FD0: D86C43C0 47000007
	ds_read_b32 v72, v7 offset:17408                           // 000000006FD8: D86C4400 48000007
	ds_read_b32 v73, v7 offset:17472                           // 000000006FE0: D86C4440 49000007
	ds_read_b32 v74, v7 offset:17536                           // 000000006FE8: D86C4480 4A000007
	ds_read_b32 v75, v7 offset:17600                           // 000000006FF0: D86C44C0 4B000007
	ds_read_b32 v76, v7 offset:17664                           // 000000006FF8: D86C4500 4C000007
	ds_read_b32 v77, v7 offset:17728                           // 000000007000: D86C4540 4D000007
	ds_read_b32 v78, v7 offset:17792                           // 000000007008: D86C4580 4E000007
	ds_read_b32 v79, v7 offset:17856                           // 000000007010: D86C45C0 4F000007
	s_waitcnt lgkmcnt(0)                                       // 000000007018: BF8CC07F
	v_max3_f32 v48, |v64|, |v65|, v48                          // 00000000701C: D1D30330 04C28340
	v_max3_f32 v48, |v66|, |v67|, v48                          // 000000007024: D1D30330 04C28742
	v_max3_f32 v48, |v68|, |v69|, v48                          // 00000000702C: D1D30330 04C28B44
	v_max3_f32 v48, |v70|, |v71|, v48                          // 000000007034: D1D30330 04C28F46
	v_max3_f32 v48, |v72|, |v73|, v48                          // 00000000703C: D1D30330 04C29348
	v_max3_f32 v48, |v74|, |v75|, v48                          // 000000007044: D1D30330 04C2974A
	v_max3_f32 v48, |v76|, |v77|, v48                          // 00000000704C: D1D30330 04C29B4C
	v_max3_f32 v48, |v78|, |v79|, v48                          // 000000007054: D1D30330 04C29F4E
	v_rcp_f32_e32 v48, v48                                     // 00000000705C: 7E604530
	s_nop 1                                                    // 000000007060: BF800001
	v_mul_f32_e32 v48, 0x42fe0000, v48                         // 000000007064: 0A6060FF 42FE0000
	v_mul_f32_e32 v80, v48, v80                                // 00000000706C: 0AA0A130
	v_mul_f32_e32 v81, v48, v81                                // 000000007070: 0AA2A330
	v_mul_f32_e32 v82, v48, v82                                // 000000007074: 0AA4A530
	v_mul_f32_e32 v83, v48, v83                                // 000000007078: 0AA6A730
	v_mul_f32_e32 v84, v48, v84                                // 00000000707C: 0AA8A930
	v_mul_f32_e32 v85, v48, v85                                // 000000007080: 0AAAAB30
	v_mul_f32_e32 v86, v48, v86                                // 000000007084: 0AACAD30
	v_mul_f32_e32 v87, v48, v87                                // 000000007088: 0AAEAF30
	v_cvt_i32_f32_e32 v80, v80                                 // 00000000708C: 7EA01150
	v_cvt_i32_f32_e32 v81, v81                                 // 000000007090: 7EA21151
	v_cvt_i32_f32_e32 v82, v82                                 // 000000007094: 7EA41152
	v_cvt_i32_f32_e32 v83, v83                                 // 000000007098: 7EA61153
	v_cvt_i32_f32_e32 v84, v84                                 // 00000000709C: 7EA81154
	v_cvt_i32_f32_e32 v85, v85                                 // 0000000070A0: 7EAA1155
	v_cvt_i32_f32_e32 v86, v86                                 // 0000000070A4: 7EAC1156
	v_cvt_i32_f32_e32 v87, v87                                 // 0000000070A8: 7EAE1157
	v_rcp_f32_e32 v18, v48                                     // 0000000070AC: 7E244530
	v_perm_b32 v80, v81, v80, s53                              // 0000000070B0: D1ED0050 00D6A151
	v_perm_b32 v80, v82, v80, s54                              // 0000000070B8: D1ED0050 00DAA152
	v_perm_b32 v80, v83, v80, s55                              // 0000000070C0: D1ED0050 00DEA153
	v_perm_b32 v81, v85, v84, s53                              // 0000000070C8: D1ED0051 00D6A955
	v_perm_b32 v81, v86, v81, s54                              // 0000000070D0: D1ED0051 00DAA356
	v_perm_b32 v81, v87, v81, s55                              // 0000000070D8: D1ED0051 00DEA357
	ds_write_b32 v10, v80 offset:25088                         // 0000000070E0: D81A6200 0000500A
	ds_write_b32 v10, v81 offset:26112                         // 0000000070E8: D81A6600 0000510A
	s_waitcnt lgkmcnt(0)                                       // 0000000070F0: BF8CC07F
	s_barrier                                                  // 0000000070F4: BF8A0000
	ds_read_b64 v[80:81], v9 offset:25088                      // 0000000070F8: D8EC6200 50000009
	ds_read_b64 v[82:83], v9 offset:25216                      // 000000007100: D8EC6280 52000009
	ds_read_b64 v[84:85], v9 offset:26112                      // 000000007108: D8EC6600 54000009
	ds_read_b64 v[86:87], v9 offset:26240                      // 000000007110: D8EC6680 56000009
	v_mov_b32_e32 v208, 0                                      // 000000007118: 7FA00280
	v_mov_b32_e32 v209, 0                                      // 00000000711C: 7FA20280
	v_mov_b32_e32 v210, 0                                      // 000000007120: 7FA40280
	v_mov_b32_e32 v211, 0                                      // 000000007124: 7FA60280
	v_mov_b32_e32 v212, 0                                      // 000000007128: 7FA80280
	v_mov_b32_e32 v213, 0                                      // 00000000712C: 7FAA0280
	v_mov_b32_e32 v214, 0                                      // 000000007130: 7FAC0280
	v_mov_b32_e32 v215, 0                                      // 000000007134: 7FAE0280
	v_mov_b32_e32 v176, 0                                      // 000000007138: 7F600280
	v_mov_b32_e32 v177, 0                                      // 00000000713C: 7F620280
	v_mov_b32_e32 v178, 0                                      // 000000007140: 7F640280
	v_mov_b32_e32 v179, 0                                      // 000000007144: 7F660280
	v_mov_b32_e32 v180, 0                                      // 000000007148: 7F680280
	v_mov_b32_e32 v181, 0                                      // 00000000714C: 7F6A0280
	v_mov_b32_e32 v182, 0                                      // 000000007150: 7F6C0280
	v_mov_b32_e32 v183, 0                                      // 000000007154: 7F6E0280
	ds_read_b64 v[88:89], v4 offset:4224                       // 000000007158: D8EC1080 58000004
	ds_read_b64 v[92:93], v4 offset:4352                       // 000000007160: D8EC1100 5C000004
	s_waitcnt lgkmcnt(0)                                       // 000000007168: BF8CC07F
	v_and_b32_e32 v91, 0xffff0000, v89                         // 00000000716C: 26B6B2FF FFFF0000
	v_lshlrev_b32_e32 v90, 16, v89                             // 000000007174: 24B4B290
	v_and_b32_e32 v89, 0xffff0000, v88                         // 000000007178: 26B2B0FF FFFF0000
	v_lshlrev_b32_e32 v88, 16, v88                             // 000000007180: 24B0B090
	v_and_b32_e32 v95, 0xffff0000, v93                         // 000000007184: 26BEBAFF FFFF0000
	v_lshlrev_b32_e32 v94, 16, v93                             // 00000000718C: 24BCBA90
	v_and_b32_e32 v93, 0xffff0000, v92                         // 000000007190: 26BAB8FF FFFF0000
	v_lshlrev_b32_e32 v92, 16, v92                             // 000000007198: 24B8B890
	v_mov_b32_e32 v48, 0x358637bd                              // 00000000719C: 7E6002FF 358637BD
	v_max3_f32 v48, |v88|, |v89|, v48                          // 0000000071A4: D1D30330 04C2B358
	v_max3_f32 v48, |v90|, |v91|, v48                          // 0000000071AC: D1D30330 04C2B75A
	v_max3_f32 v48, |v92|, |v93|, v48                          // 0000000071B4: D1D30330 04C2BB5C
	v_max3_f32 v48, |v94|, |v95|, v48                          // 0000000071BC: D1D30330 04C2BF5E
	ds_write_b32 v8, v48 offset:16896                          // 0000000071C4: D81A4200 00003008
	s_waitcnt lgkmcnt(0)                                       // 0000000071CC: BF8CC07F
	s_barrier                                                  // 0000000071D0: BF8A0000
	ds_read_b32 v64, v7 offset:16896                           // 0000000071D4: D86C4200 40000007
	ds_read_b32 v65, v7 offset:16960                           // 0000000071DC: D86C4240 41000007
	ds_read_b32 v66, v7 offset:17024                           // 0000000071E4: D86C4280 42000007
	ds_read_b32 v67, v7 offset:17088                           // 0000000071EC: D86C42C0 43000007
	ds_read_b32 v68, v7 offset:17152                           // 0000000071F4: D86C4300 44000007
	ds_read_b32 v69, v7 offset:17216                           // 0000000071FC: D86C4340 45000007
	ds_read_b32 v70, v7 offset:17280                           // 000000007204: D86C4380 46000007
	ds_read_b32 v71, v7 offset:17344                           // 00000000720C: D86C43C0 47000007
	ds_read_b32 v72, v7 offset:17408                           // 000000007214: D86C4400 48000007
	ds_read_b32 v73, v7 offset:17472                           // 00000000721C: D86C4440 49000007
	ds_read_b32 v74, v7 offset:17536                           // 000000007224: D86C4480 4A000007
	ds_read_b32 v75, v7 offset:17600                           // 00000000722C: D86C44C0 4B000007
	ds_read_b32 v76, v7 offset:17664                           // 000000007234: D86C4500 4C000007
	ds_read_b32 v77, v7 offset:17728                           // 00000000723C: D86C4540 4D000007
	ds_read_b32 v78, v7 offset:17792                           // 000000007244: D86C4580 4E000007
	ds_read_b32 v79, v7 offset:17856                           // 00000000724C: D86C45C0 4F000007
	s_waitcnt lgkmcnt(0)                                       // 000000007254: BF8CC07F
	v_max3_f32 v48, |v64|, |v65|, v48                          // 000000007258: D1D30330 04C28340
	v_max3_f32 v48, |v66|, |v67|, v48                          // 000000007260: D1D30330 04C28742
	v_max3_f32 v48, |v68|, |v69|, v48                          // 000000007268: D1D30330 04C28B44
	v_max3_f32 v48, |v70|, |v71|, v48                          // 000000007270: D1D30330 04C28F46
	v_max3_f32 v48, |v72|, |v73|, v48                          // 000000007278: D1D30330 04C29348
	v_max3_f32 v48, |v74|, |v75|, v48                          // 000000007280: D1D30330 04C2974A
	v_max3_f32 v48, |v76|, |v77|, v48                          // 000000007288: D1D30330 04C29B4C
	v_max3_f32 v48, |v78|, |v79|, v48                          // 000000007290: D1D30330 04C29F4E
	v_rcp_f32_e32 v48, v48                                     // 000000007298: 7E604530
	s_nop 1                                                    // 00000000729C: BF800001
	v_mul_f32_e32 v48, 0x42fe0000, v48                         // 0000000072A0: 0A6060FF 42FE0000
	v_mul_f32_e32 v88, v48, v88                                // 0000000072A8: 0AB0B130
	v_mul_f32_e32 v89, v48, v89                                // 0000000072AC: 0AB2B330
	v_mul_f32_e32 v90, v48, v90                                // 0000000072B0: 0AB4B530
	v_mul_f32_e32 v91, v48, v91                                // 0000000072B4: 0AB6B730
	v_mul_f32_e32 v92, v48, v92                                // 0000000072B8: 0AB8B930
	v_mul_f32_e32 v93, v48, v93                                // 0000000072BC: 0ABABB30
	v_mul_f32_e32 v94, v48, v94                                // 0000000072C0: 0ABCBD30
	v_mul_f32_e32 v95, v48, v95                                // 0000000072C4: 0ABEBF30
	v_cvt_i32_f32_e32 v88, v88                                 // 0000000072C8: 7EB01158
	v_cvt_i32_f32_e32 v89, v89                                 // 0000000072CC: 7EB21159
	v_cvt_i32_f32_e32 v90, v90                                 // 0000000072D0: 7EB4115A
	v_cvt_i32_f32_e32 v91, v91                                 // 0000000072D4: 7EB6115B
	v_cvt_i32_f32_e32 v92, v92                                 // 0000000072D8: 7EB8115C
	v_cvt_i32_f32_e32 v93, v93                                 // 0000000072DC: 7EBA115D
	v_cvt_i32_f32_e32 v94, v94                                 // 0000000072E0: 7EBC115E
	v_cvt_i32_f32_e32 v95, v95                                 // 0000000072E4: 7EBE115F
	v_rcp_f32_e32 v19, v48                                     // 0000000072E8: 7E264530
	v_perm_b32 v88, v89, v88, s53                              // 0000000072EC: D1ED0058 00D6B159
	v_perm_b32 v88, v90, v88, s54                              // 0000000072F4: D1ED0058 00DAB15A
	v_perm_b32 v88, v91, v88, s55                              // 0000000072FC: D1ED0058 00DEB15B
	v_perm_b32 v89, v93, v92, s53                              // 000000007304: D1ED0059 00D6B95D
	v_perm_b32 v89, v94, v89, s54                              // 00000000730C: D1ED0059 00DAB35E
	v_perm_b32 v89, v95, v89, s55                              // 000000007314: D1ED0059 00DEB35F
	ds_write_b32 v10, v88 offset:25088                         // 00000000731C: D81A6200 0000580A
	ds_write_b32 v10, v89 offset:26112                         // 000000007324: D81A6600 0000590A
	s_waitcnt lgkmcnt(0)                                       // 00000000732C: BF8CC07F
	s_barrier                                                  // 000000007330: BF8A0000
	ds_read_b64 v[88:89], v9 offset:25088                      // 000000007334: D8EC6200 58000009
	ds_read_b64 v[90:91], v9 offset:25216                      // 00000000733C: D8EC6280 5A000009
	ds_read_b64 v[92:93], v9 offset:26112                      // 000000007344: D8EC6600 5C000009
	ds_read_b64 v[94:95], v9 offset:26240                      // 00000000734C: D8EC6680 5E000009
	v_mov_b32_e32 v216, 0                                      // 000000007354: 7FB00280
	v_mov_b32_e32 v217, 0                                      // 000000007358: 7FB20280
	v_mov_b32_e32 v218, 0                                      // 00000000735C: 7FB40280
	v_mov_b32_e32 v219, 0                                      // 000000007360: 7FB60280
	v_mov_b32_e32 v220, 0                                      // 000000007364: 7FB80280
	v_mov_b32_e32 v221, 0                                      // 000000007368: 7FBA0280
	v_mov_b32_e32 v222, 0                                      // 00000000736C: 7FBC0280
	v_mov_b32_e32 v223, 0                                      // 000000007370: 7FBE0280
	v_mov_b32_e32 v184, 0                                      // 000000007374: 7F700280
	v_mov_b32_e32 v185, 0                                      // 000000007378: 7F720280
	v_mov_b32_e32 v186, 0                                      // 00000000737C: 7F740280
	v_mov_b32_e32 v187, 0                                      // 000000007380: 7F760280
	v_mov_b32_e32 v188, 0                                      // 000000007384: 7F780280
	v_mov_b32_e32 v189, 0                                      // 000000007388: 7F7A0280
	v_mov_b32_e32 v190, 0                                      // 00000000738C: 7F7C0280
	v_mov_b32_e32 v191, 0                                      // 000000007390: 7F7E0280
	s_waitcnt vmcnt(8) lgkmcnt(0)                              // 000000007394: BF8C0078
	s_barrier                                                  // 000000007398: BF8A0000
	s_cmp_lt_u32 s73, 16                                       // 00000000739C: BF0A9049
	s_cbranch_scc1 label_26E8                                  // 0000000073A0: BF85127F
	s_cmp_lt_i32 s7, 2                                         // 0000000073A4: BF048207
	s_cbranch_scc0 label_1DAB                                  // 0000000073A8: BF840940

00000000000073ac <label_146B>:
	s_waitcnt vmcnt(8) lgkmcnt(0)                              // 0000000073AC: BF8C0078
	v_mul_u32_u24_dpp v64, v17, v54 row_newbcast:0 row_mask:0xf bank_mask:0xf// 0000000073B0: 10806CFA FF015011
	v_mul_u32_u24_dpp v65, v17, v54 row_newbcast:4 row_mask:0xf bank_mask:0xf// 0000000073B8: 10826CFA FF015411
	v_mul_u32_u24_dpp v66, v17, v54 row_newbcast:8 row_mask:0xf bank_mask:0xf// 0000000073C0: 10846CFA FF015811
	v_mul_u32_u24_dpp v67, v17, v54 row_newbcast:12 row_mask:0xf bank_mask:0xf// 0000000073C8: 10866CFA FF015C11
	v_add_u32_e32 v26, v64, v5                                 // 0000000073D0: 68340B40
	v_add_u32_e32 v27, v65, v5                                 // 0000000073D4: 68360B41
	v_add_u32_e32 v28, v66, v5                                 // 0000000073D8: 68380B42
	v_add_u32_e32 v29, v67, v5                                 // 0000000073DC: 683A0B43
	v_mul_u32_u24_dpp v64, v17, v63 quad_perm:[0,0,0,0] row_mask:0xf bank_mask:0xf// 0000000073E0: 10807EFA FF000011
	v_add_u32_e32 v3, v64, v59                                 // 0000000073E8: 68067740
	v_mul_u32_u24_dpp v64, v17, v63 quad_perm:[0,0,0,0] row_mask:0xf bank_mask:0xf// 0000000073EC: 10807EFA FF000011
	v_add_u32_e32 v56, v64, v60                                // 0000000073F4: 68707940
	v_mfma_i32_16x16x32_i8 v[112:115], a[0:1], v[80:81], 0     // 0000000073F8: D3D70070 0A02A100
	v_mfma_i32_16x16x32_i8 v[112:115], a[2:3], v[82:83], v[112:115]// 000000007400: D3D70070 0DC2A502
	buffer_load_dwordx4 a[32:35], v26, s[16:19], 0 offen       // 000000007408: E05C1000 8084201A
	v_mfma_i32_16x16x32_i8 v[112:115], a[4:5], v[84:85], v[112:115]// 000000007410: D3D70070 0DC2A904
	v_mfma_i32_16x16x32_i8 v[112:115], a[6:7], v[86:87], v[112:115]// 000000007418: D3D70070 0DC2AD06
	buffer_load_dword v16, v1, s[24:27], 0 offen               // 000000007420: E0501000 80061001
	v_mfma_i32_16x16x32_i8 v[116:119], a[8:9], v[80:81], 0     // 000000007428: D3D70074 0A02A108
	v_mfma_i32_16x16x32_i8 v[116:119], a[10:11], v[82:83], v[116:119]// 000000007430: D3D70074 0DD2A50A
	buffer_load_dwordx4 a[36:39], v26, s[16:19], 0 offen offset:1024// 000000007438: E05C1400 8084241A
	v_mfma_i32_16x16x32_i8 v[116:119], a[12:13], v[84:85], v[116:119]// 000000007440: D3D70074 0DD2A90C
	v_mfma_i32_16x16x32_i8 v[116:119], a[14:15], v[86:87], v[116:119]// 000000007448: D3D70074 0DD2AD0E
	v_mfma_i32_16x16x32_i8 v[120:123], a[16:17], v[80:81], 0   // 000000007450: D3D70078 0A02A110
	v_mfma_i32_16x16x32_i8 v[120:123], a[18:19], v[82:83], v[120:123]// 000000007458: D3D70078 0DE2A512
	buffer_load_dwordx4 a[40:43], v27, s[16:19], 0 offen       // 000000007460: E05C1000 8084281B
	v_mfma_i32_16x16x32_i8 v[120:123], a[20:21], v[84:85], v[120:123]// 000000007468: D3D70078 0DE2A914
	v_mfma_i32_16x16x32_i8 v[120:123], a[22:23], v[86:87], v[120:123]// 000000007470: D3D70078 0DE2AD16
	v_mfma_i32_16x16x32_i8 v[124:127], a[24:25], v[80:81], 0   // 000000007478: D3D7007C 0A02A118
	v_mfma_i32_16x16x32_i8 v[124:127], a[26:27], v[82:83], v[124:127]// 000000007480: D3D7007C 0DF2A51A
	buffer_load_dwordx4 a[44:47], v27, s[16:19], 0 offen offset:1024// 000000007488: E05C1400 80842C1B
	v_mfma_i32_16x16x32_i8 v[124:127], a[28:29], v[84:85], v[124:127]// 000000007490: D3D7007C 0DF2A91C
	v_mfma_i32_16x16x32_i8 v[124:127], a[30:31], v[86:87], v[124:127]// 000000007498: D3D7007C 0DF2AD1E
	v_mfma_i32_16x16x32_i8 v[128:131], a[0:1], v[88:89], 0     // 0000000074A0: D3D70080 0A02B100
	v_mfma_i32_16x16x32_i8 v[128:131], a[2:3], v[90:91], v[128:131]// 0000000074A8: D3D70080 0E02B502
	v_mfma_i32_16x16x32_i8 v[128:131], a[4:5], v[92:93], v[128:131]// 0000000074B0: D3D70080 0E02B904
	v_mfma_i32_16x16x32_i8 v[128:131], a[6:7], v[94:95], v[128:131]// 0000000074B8: D3D70080 0E02BD06
	v_mfma_i32_16x16x32_i8 v[132:135], a[8:9], v[88:89], 0     // 0000000074C0: D3D70084 0A02B108
	v_mfma_i32_16x16x32_i8 v[132:135], a[10:11], v[90:91], v[132:135]// 0000000074C8: D3D70084 0E12B50A
	v_mfma_i32_16x16x32_i8 v[132:135], a[12:13], v[92:93], v[132:135]// 0000000074D0: D3D70084 0E12B90C
	v_mfma_i32_16x16x32_i8 v[132:135], a[14:15], v[94:95], v[132:135]// 0000000074D8: D3D70084 0E12BD0E
	v_mfma_i32_16x16x32_i8 v[136:139], a[16:17], v[88:89], 0   // 0000000074E0: D3D70088 0A02B110
	v_mfma_i32_16x16x32_i8 v[136:139], a[18:19], v[90:91], v[136:139]// 0000000074E8: D3D70088 0E22B512
	v_mfma_i32_16x16x32_i8 v[136:139], a[20:21], v[92:93], v[136:139]// 0000000074F0: D3D70088 0E22B914
	v_mfma_i32_16x16x32_i8 v[136:139], a[22:23], v[94:95], v[136:139]// 0000000074F8: D3D70088 0E22BD16
	v_mfma_i32_16x16x32_i8 v[140:143], a[24:25], v[88:89], 0   // 000000007500: D3D7008C 0A02B118
	v_mfma_i32_16x16x32_i8 v[140:143], a[26:27], v[90:91], v[140:143]// 000000007508: D3D7008C 0E32B51A
	v_mfma_i32_16x16x32_i8 v[140:143], a[28:29], v[92:93], v[140:143]// 000000007510: D3D7008C 0E32B91C
	v_mfma_i32_16x16x32_i8 v[140:143], a[30:31], v[94:95], v[140:143]// 000000007518: D3D7008C 0E32BD1E
	buffer_load_dword v43, v3, s[32:35], 0 offen               // 000000007520: E0501000 80082B03
	v_mov_b32_dpp v64, v42 row_shr:4 row_mask:0xf bank_mask:0xf// 000000007528: 7E8002FA FF01142A
	v_mov_b32_dpp v65, v42 row_shl:4 row_mask:0xf bank_mask:0xf// 000000007530: 7E8202FA FF01042A
	v_cndmask_b32_e64 v248, v42, v64, s[44:45]                 // 000000007538: D10000F8 00B2812A
	v_cndmask_b32_e64 v249, v65, v42, s[44:45]                 // 000000007540: D10000F9 00B25541
	v_mov_b32_dpp v64, v248 row_shr:8 row_mask:0xf bank_mask:0xf// 000000007548: 7E8002FA FF0118F8
	v_mov_b32_dpp v65, v248 row_shl:8 row_mask:0xf bank_mask:0xf// 000000007550: 7E8202FA FF0108F8
	v_mov_b32_dpp v66, v249 row_shr:8 row_mask:0xf bank_mask:0xf// 000000007558: 7E8402FA FF0118F9
	v_mov_b32_dpp v67, v249 row_shl:8 row_mask:0xf bank_mask:0xf// 000000007560: 7E8602FA FF0108F9
	v_mov_b32_e32 v68, v248                                    // 000000007568: 7E8803F8
	v_mov_b32_e32 v69, v249                                    // 00000000756C: 7E8A03F9
	v_cndmask_b32_e64 v248, v68, v64, s[42:43]                 // 000000007570: D10000F8 00AA8144
	v_cndmask_b32_e64 v250, v68, v65, s[78:79]                 // 000000007578: D10000FA 013A8344
	v_cndmask_b32_e64 v249, v69, v66, s[42:43]                 // 000000007580: D10000F9 00AA8545
	v_cndmask_b32_e64 v251, v69, v67, s[78:79]                 // 000000007588: D10000FB 013A8745
	v_mov_b32_dpp v64, v57 row_shr:4 row_mask:0xf bank_mask:0xf// 000000007590: 7E8002FA FF011439
	v_mov_b32_dpp v65, v57 row_shl:4 row_mask:0xf bank_mask:0xf// 000000007598: 7E8202FA FF010439
	v_cndmask_b32_e64 v252, v57, v64, s[44:45]                 // 0000000075A0: D10000FC 00B28139
	v_cndmask_b32_e64 v253, v65, v57, s[44:45]                 // 0000000075A8: D10000FD 00B27341
	v_mov_b32_dpp v64, v252 row_shr:8 row_mask:0xf bank_mask:0xf// 0000000075B0: 7E8002FA FF0118FC
	v_mov_b32_dpp v65, v252 row_shl:8 row_mask:0xf bank_mask:0xf// 0000000075B8: 7E8202FA FF0108FC
	v_mov_b32_dpp v66, v253 row_shr:8 row_mask:0xf bank_mask:0xf// 0000000075C0: 7E8402FA FF0118FD
	v_mov_b32_dpp v67, v253 row_shl:8 row_mask:0xf bank_mask:0xf// 0000000075C8: 7E8602FA FF0108FD
	v_mov_b32_e32 v68, v252                                    // 0000000075D0: 7E8803FC
	v_mov_b32_e32 v69, v253                                    // 0000000075D4: 7E8A03FD
	v_cndmask_b32_e64 v252, v68, v64, s[42:43]                 // 0000000075D8: D10000FC 00AA8144
	v_cndmask_b32_e64 v254, v68, v65, s[78:79]                 // 0000000075E0: D10000FE 013A8344
	v_cndmask_b32_e64 v253, v69, v66, s[42:43]                 // 0000000075E8: D10000FD 00AA8545
	v_cndmask_b32_e64 v255, v69, v67, s[78:79]                 // 0000000075F0: D10000FF 013A8745
	buffer_load_dword v58, v56, s[36:39], 0 offen              // 0000000075F8: E0501000 80093A38
	v_cvt_f32_i32_e32 v112, v112                               // 000000007600: 7EE00B70
	v_cvt_f32_i32_e32 v113, v113                               // 000000007604: 7EE20B71
	v_cvt_f32_i32_e32 v114, v114                               // 000000007608: 7EE40B72
	v_cvt_f32_i32_e32 v115, v115                               // 00000000760C: 7EE60B73
	v_cvt_f32_i32_e32 v116, v116                               // 000000007610: 7EE80B74
	v_cvt_f32_i32_e32 v117, v117                               // 000000007614: 7EEA0B75
	v_cvt_f32_i32_e32 v118, v118                               // 000000007618: 7EEC0B76
	v_cvt_f32_i32_e32 v119, v119                               // 00000000761C: 7EEE0B77
	v_cvt_f32_i32_e32 v120, v120                               // 000000007620: 7EF00B78
	v_cvt_f32_i32_e32 v121, v121                               // 000000007624: 7EF20B79
	v_cvt_f32_i32_e32 v122, v122                               // 000000007628: 7EF40B7A
	v_cvt_f32_i32_e32 v123, v123                               // 00000000762C: 7EF60B7B
	v_cvt_f32_i32_e32 v124, v124                               // 000000007630: 7EF80B7C
	v_cvt_f32_i32_e32 v125, v125                               // 000000007634: 7EFA0B7D
	v_cvt_f32_i32_e32 v126, v126                               // 000000007638: 7EFC0B7E
	v_cvt_f32_i32_e32 v127, v127                               // 00000000763C: 7EFE0B7F
	v_mul_f32_e32 v112, v18, v112                              // 000000007640: 0AE0E112
	v_mul_f32_e32 v113, v18, v113                              // 000000007644: 0AE2E312
	v_mul_f32_e32 v114, v18, v114                              // 000000007648: 0AE4E512
	v_mul_f32_e32 v115, v18, v115                              // 00000000764C: 0AE6E712
	v_mul_f32_e32 v116, v18, v116                              // 000000007650: 0AE8E912
	v_mul_f32_e32 v117, v18, v117                              // 000000007654: 0AEAEB12
	v_mul_f32_e32 v118, v18, v118                              // 000000007658: 0AECED12
	v_mul_f32_e32 v119, v18, v119                              // 00000000765C: 0AEEEF12
	v_mul_f32_e32 v120, v18, v120                              // 000000007660: 0AF0F112
	v_mul_f32_e32 v121, v18, v121                              // 000000007664: 0AF2F312
	v_mul_f32_e32 v122, v18, v122                              // 000000007668: 0AF4F512
	v_mul_f32_e32 v123, v18, v123                              // 00000000766C: 0AF6F712
	v_mul_f32_e32 v124, v18, v124                              // 000000007670: 0AF8F912
	v_mul_f32_e32 v125, v18, v125                              // 000000007674: 0AFAFB12
	v_mul_f32_e32 v126, v18, v126                              // 000000007678: 0AFCFD12
	v_mul_f32_e32 v127, v18, v127                              // 00000000767C: 0AFEFF12
	buffer_load_dwordx4 a[48:51], v28, s[16:19], 0 offen       // 000000007680: E05C1000 8084301C
	v_mul_f32_dpp v112, v248, v112 quad_perm:[0,0,0,0] row_mask:0xf bank_mask:0xf// 000000007688: 0AE0E0FA FF0000F8
	v_mul_f32_dpp v113, v248, v113 quad_perm:[1,1,1,1] row_mask:0xf bank_mask:0xf// 000000007690: 0AE2E2FA FF0055F8
	v_mul_f32_dpp v114, v248, v114 quad_perm:[2,2,2,2] row_mask:0xf bank_mask:0xf// 000000007698: 0AE4E4FA FF00AAF8
	v_mul_f32_dpp v115, v248, v115 quad_perm:[3,3,3,3] row_mask:0xf bank_mask:0xf// 0000000076A0: 0AE6E6FA FF00FFF8
	v_mul_f32_dpp v116, v249, v116 quad_perm:[0,0,0,0] row_mask:0xf bank_mask:0xf// 0000000076A8: 0AE8E8FA FF0000F9
	v_mul_f32_dpp v117, v249, v117 quad_perm:[1,1,1,1] row_mask:0xf bank_mask:0xf// 0000000076B0: 0AEAEAFA FF0055F9
	v_mul_f32_dpp v118, v249, v118 quad_perm:[2,2,2,2] row_mask:0xf bank_mask:0xf// 0000000076B8: 0AECECFA FF00AAF9
	v_mul_f32_dpp v119, v249, v119 quad_perm:[3,3,3,3] row_mask:0xf bank_mask:0xf// 0000000076C0: 0AEEEEFA FF00FFF9
	v_mul_f32_dpp v120, v250, v120 quad_perm:[0,0,0,0] row_mask:0xf bank_mask:0xf// 0000000076C8: 0AF0F0FA FF0000FA
	v_mul_f32_dpp v121, v250, v121 quad_perm:[1,1,1,1] row_mask:0xf bank_mask:0xf// 0000000076D0: 0AF2F2FA FF0055FA
	v_mul_f32_dpp v122, v250, v122 quad_perm:[2,2,2,2] row_mask:0xf bank_mask:0xf// 0000000076D8: 0AF4F4FA FF00AAFA
	v_mul_f32_dpp v123, v250, v123 quad_perm:[3,3,3,3] row_mask:0xf bank_mask:0xf// 0000000076E0: 0AF6F6FA FF00FFFA
	v_mul_f32_dpp v124, v251, v124 quad_perm:[0,0,0,0] row_mask:0xf bank_mask:0xf// 0000000076E8: 0AF8F8FA FF0000FB
	v_mul_f32_dpp v125, v251, v125 quad_perm:[1,1,1,1] row_mask:0xf bank_mask:0xf// 0000000076F0: 0AFAFAFA FF0055FB
	v_mul_f32_dpp v126, v251, v126 quad_perm:[2,2,2,2] row_mask:0xf bank_mask:0xf// 0000000076F8: 0AFCFCFA FF00AAFB
	v_mul_f32_dpp v127, v251, v127 quad_perm:[3,3,3,3] row_mask:0xf bank_mask:0xf// 000000007700: 0AFEFEFA FF00FFFB
	buffer_load_dwordx4 a[52:55], v28, s[16:19], 0 offen offset:1024// 000000007708: E05C1400 8084341C
	v_mov_b32_e32 v48, v112                                    // 000000007710: 7E600370
	v_max3_f32 v48, v112, v113, v48                            // 000000007714: D1D30030 04C2E370
	v_max3_f32 v48, v114, v115, v48                            // 00000000771C: D1D30030 04C2E772
	v_max3_f32 v48, v116, v117, v48                            // 000000007724: D1D30030 04C2EB74
	v_max3_f32 v48, v118, v119, v48                            // 00000000772C: D1D30030 04C2EF76
	v_max3_f32 v48, v120, v121, v48                            // 000000007734: D1D30030 04C2F378
	v_max3_f32 v48, v122, v123, v48                            // 00000000773C: D1D30030 04C2F77A
	v_max3_f32 v48, v124, v125, v48                            // 000000007744: D1D30030 04C2FB7C
	v_max3_f32 v48, v126, v127, v48                            // 00000000774C: D1D30030 04C2FF7E
	ds_write_b32 v8, v48 offset:16896                          // 000000007754: D81A4200 00003008
	buffer_load_dwordx4 a[56:59], v29, s[16:19], 0 offen       // 00000000775C: E05C1000 8084381D
	v_mul_u32_u24_dpp v64, v17, v54 row_newbcast:1 row_mask:0xf bank_mask:0xf// 000000007764: 10806CFA FF015111
	v_mul_u32_u24_dpp v65, v17, v54 row_newbcast:5 row_mask:0xf bank_mask:0xf// 00000000776C: 10826CFA FF015511
	v_mul_u32_u24_dpp v66, v17, v54 row_newbcast:9 row_mask:0xf bank_mask:0xf// 000000007774: 10846CFA FF015911
	v_mul_u32_u24_dpp v67, v17, v54 row_newbcast:13 row_mask:0xf bank_mask:0xf// 00000000777C: 10866CFA FF015D11
	v_add_u32_e32 v34, v64, v6                                 // 000000007784: 68440D40
	v_add_u32_e32 v35, v65, v6                                 // 000000007788: 68460D41
	v_add_u32_e32 v36, v66, v6                                 // 00000000778C: 68480D42
	v_add_u32_e32 v37, v67, v6                                 // 000000007790: 684A0D43
	v_mul_f32_e32 v208, v49, v208                              // 000000007794: 0BA1A131
	v_mul_f32_e32 v209, v49, v209                              // 000000007798: 0BA3A331
	v_mul_f32_e32 v210, v49, v210                              // 00000000779C: 0BA5A531
	v_mul_f32_e32 v211, v49, v211                              // 0000000077A0: 0BA7A731
	v_mul_f32_e32 v212, v49, v212                              // 0000000077A4: 0BA9A931
	v_mul_f32_e32 v213, v49, v213                              // 0000000077A8: 0BABAB31
	v_mul_f32_e32 v214, v49, v214                              // 0000000077AC: 0BADAD31
	v_mul_f32_e32 v215, v49, v215                              // 0000000077B0: 0BAFAF31
	s_waitcnt lgkmcnt(0)                                       // 0000000077B4: BF8CC07F
	s_barrier                                                  // 0000000077B8: BF8A0000
	ds_read_b32 v64, v7 offset:16896                           // 0000000077BC: D86C4200 40000007
	ds_read_b32 v65, v7 offset:16960                           // 0000000077C4: D86C4240 41000007
	ds_read_b32 v66, v7 offset:17024                           // 0000000077CC: D86C4280 42000007
	ds_read_b32 v67, v7 offset:17088                           // 0000000077D4: D86C42C0 43000007
	ds_read_b32 v68, v7 offset:17152                           // 0000000077DC: D86C4300 44000007
	ds_read_b32 v69, v7 offset:17216                           // 0000000077E4: D86C4340 45000007
	ds_read_b32 v70, v7 offset:17280                           // 0000000077EC: D86C4380 46000007
	ds_read_b32 v71, v7 offset:17344                           // 0000000077F4: D86C43C0 47000007
	ds_read_b32 v72, v7 offset:17408                           // 0000000077FC: D86C4400 48000007
	ds_read_b32 v73, v7 offset:17472                           // 000000007804: D86C4440 49000007
	ds_read_b32 v74, v7 offset:17536                           // 00000000780C: D86C4480 4A000007
	ds_read_b32 v75, v7 offset:17600                           // 000000007814: D86C44C0 4B000007
	ds_read_b32 v76, v7 offset:17664                           // 00000000781C: D86C4500 4C000007
	ds_read_b32 v77, v7 offset:17728                           // 000000007824: D86C4540 4D000007
	ds_read_b32 v78, v7 offset:17792                           // 00000000782C: D86C4580 4E000007
	ds_read_b32 v79, v7 offset:17856                           // 000000007834: D86C45C0 4F000007
	buffer_load_dwordx4 a[60:63], v29, s[16:19], 0 offen offset:1024// 00000000783C: E05C1400 80843C1D
	v_cvt_f32_i32_e32 v176, v176                               // 000000007844: 7F600BB0
	v_cvt_f32_i32_e32 v177, v177                               // 000000007848: 7F620BB1
	v_cvt_f32_i32_e32 v178, v178                               // 00000000784C: 7F640BB2
	v_cvt_f32_i32_e32 v179, v179                               // 000000007850: 7F660BB3
	v_cvt_f32_i32_e32 v180, v180                               // 000000007854: 7F680BB4
	v_cvt_f32_i32_e32 v181, v181                               // 000000007858: 7F6A0BB5
	v_cvt_f32_i32_e32 v182, v182                               // 00000000785C: 7F6C0BB6
	v_cvt_f32_i32_e32 v183, v183                               // 000000007860: 7F6E0BB7
	v_mul_f32_e32 v176, v44, v176                              // 000000007864: 0B61612C
	v_mul_f32_e32 v177, v44, v177                              // 000000007868: 0B63632C
	v_mul_f32_e32 v178, v44, v178                              // 00000000786C: 0B65652C
	v_mul_f32_e32 v179, v44, v179                              // 000000007870: 0B67672C
	v_mul_f32_e32 v180, v44, v180                              // 000000007874: 0B69692C
	v_mul_f32_e32 v181, v44, v181                              // 000000007878: 0B6B6B2C
	v_mul_f32_e32 v182, v44, v182                              // 00000000787C: 0B6D6D2C
	v_mul_f32_e32 v183, v44, v183                              // 000000007880: 0B6F6F2C
	s_waitcnt lgkmcnt(0)                                       // 000000007884: BF8CC07F
	v_max3_f32 v48, v64, v65, v48                              // 000000007888: D1D30030 04C28340
	v_max3_f32 v48, v66, v67, v48                              // 000000007890: D1D30030 04C28742
	v_max3_f32 v48, v68, v69, v48                              // 000000007898: D1D30030 04C28B44
	v_max3_f32 v48, v70, v71, v48                              // 0000000078A0: D1D30030 04C28F46
	v_max3_f32 v48, v72, v73, v48                              // 0000000078A8: D1D30030 04C29348
	v_max3_f32 v48, v74, v75, v48                              // 0000000078B0: D1D30030 04C2974A
	v_max3_f32 v48, v76, v77, v48                              // 0000000078B8: D1D30030 04C29B4C
	v_max3_f32 v48, v78, v79, v48                              // 0000000078C0: D1D30030 04C29F4E
	buffer_load_dwordx4 a[96:99], v34, s[20:23], 0 offen       // 0000000078C8: E05C1000 80856022
	v_mov_b32_e32 v64, 0xff800000                              // 0000000078D0: 7E8002FF FF800000
	v_cmp_eq_u32_e64 s[40:41], v64, v11                        // 0000000078D8: D0CA0028 00021740
	s_nop 1                                                    // 0000000078E0: BF800001
	v_max_f32_e32 v15, v48, v11                                // 0000000078E4: 161E1730
	v_mul_f32_e32 v53, s64, v15                                // 0000000078E8: 0A6A1E40
	v_fma_f32 v112, v112, s64, -v53                            // 0000000078EC: D1CB0070 84D48170
	v_fma_f32 v113, v113, s64, -v53                            // 0000000078F4: D1CB0071 84D48171
	v_fma_f32 v114, v114, s64, -v53                            // 0000000078FC: D1CB0072 84D48172
	v_fma_f32 v115, v115, s64, -v53                            // 000000007904: D1CB0073 84D48173
	v_fma_f32 v116, v116, s64, -v53                            // 00000000790C: D1CB0074 84D48174
	v_fma_f32 v117, v117, s64, -v53                            // 000000007914: D1CB0075 84D48175
	v_fma_f32 v118, v118, s64, -v53                            // 00000000791C: D1CB0076 84D48176
	v_fma_f32 v119, v119, s64, -v53                            // 000000007924: D1CB0077 84D48177
	v_fma_f32 v120, v120, s64, -v53                            // 00000000792C: D1CB0078 84D48178
	v_fma_f32 v121, v121, s64, -v53                            // 000000007934: D1CB0079 84D48179
	v_fma_f32 v122, v122, s64, -v53                            // 00000000793C: D1CB007A 84D4817A
	v_fma_f32 v123, v123, s64, -v53                            // 000000007944: D1CB007B 84D4817B
	v_fma_f32 v124, v124, s64, -v53                            // 00000000794C: D1CB007C 84D4817C
	v_fma_f32 v125, v125, s64, -v53                            // 000000007954: D1CB007D 84D4817D
	v_fma_f32 v126, v126, s64, -v53                            // 00000000795C: D1CB007E 84D4817E
	v_fma_f32 v127, v127, s64, -v53                            // 000000007964: D1CB007F 84D4817F
	buffer_load_dwordx4 a[100:103], v35, s[20:23], 0 offen     // 00000000796C: E05C1000 80856423
	v_exp_f32_e32 v112, v112                                   // 000000007974: 7EE04170
	v_exp_f32_e32 v113, v113                                   // 000000007978: 7EE24171
	v_exp_f32_e32 v114, v114                                   // 00000000797C: 7EE44172
	v_exp_f32_e32 v115, v115                                   // 000000007980: 7EE64173
	v_exp_f32_e32 v116, v116                                   // 000000007984: 7EE84174
	v_exp_f32_e32 v117, v117                                   // 000000007988: 7EEA4175
	v_exp_f32_e32 v118, v118                                   // 00000000798C: 7EEC4176
	v_exp_f32_e32 v119, v119                                   // 000000007990: 7EEE4177
	v_exp_f32_e32 v120, v120                                   // 000000007994: 7EF04178
	v_exp_f32_e32 v121, v121                                   // 000000007998: 7EF24179
	v_exp_f32_e32 v122, v122                                   // 00000000799C: 7EF4417A
	v_exp_f32_e32 v123, v123                                   // 0000000079A0: 7EF6417B
	v_exp_f32_e32 v124, v124                                   // 0000000079A4: 7EF8417C
	v_exp_f32_e32 v125, v125                                   // 0000000079A8: 7EFA417D
	v_exp_f32_e32 v126, v126                                   // 0000000079AC: 7EFC417E
	v_exp_f32_e32 v127, v127                                   // 0000000079B0: 7EFE417F
	buffer_load_dwordx4 a[104:107], v36, s[20:23], 0 offen     // 0000000079B4: E05C1000 80856824
	v_mul_f32_dpp v240, v252, v112 quad_perm:[0,0,0,0] row_mask:0xf bank_mask:0xf// 0000000079BC: 0BE0E0FA FF0000FC
	v_mul_f32_dpp v241, v252, v113 quad_perm:[1,1,1,1] row_mask:0xf bank_mask:0xf// 0000000079C4: 0BE2E2FA FF0055FC
	v_mul_f32_dpp v242, v252, v114 quad_perm:[2,2,2,2] row_mask:0xf bank_mask:0xf// 0000000079CC: 0BE4E4FA FF00AAFC
	v_mul_f32_dpp v243, v252, v115 quad_perm:[3,3,3,3] row_mask:0xf bank_mask:0xf// 0000000079D4: 0BE6E6FA FF00FFFC
	v_mul_f32_dpp v244, v253, v116 quad_perm:[0,0,0,0] row_mask:0xf bank_mask:0xf// 0000000079DC: 0BE8E8FA FF0000FD
	v_mul_f32_dpp v245, v253, v117 quad_perm:[1,1,1,1] row_mask:0xf bank_mask:0xf// 0000000079E4: 0BEAEAFA FF0055FD
	v_mul_f32_dpp v246, v253, v118 quad_perm:[2,2,2,2] row_mask:0xf bank_mask:0xf// 0000000079EC: 0BECECFA FF00AAFD
	v_mul_f32_dpp v247, v253, v119 quad_perm:[3,3,3,3] row_mask:0xf bank_mask:0xf// 0000000079F4: 0BEEEEFA FF00FFFD
	v_mul_f32_dpp v248, v254, v120 quad_perm:[0,0,0,0] row_mask:0xf bank_mask:0xf// 0000000079FC: 0BF0F0FA FF0000FE
	v_mul_f32_dpp v249, v254, v121 quad_perm:[1,1,1,1] row_mask:0xf bank_mask:0xf// 000000007A04: 0BF2F2FA FF0055FE
	v_mul_f32_dpp v250, v254, v122 quad_perm:[2,2,2,2] row_mask:0xf bank_mask:0xf// 000000007A0C: 0BF4F4FA FF00AAFE
	v_mul_f32_dpp v251, v254, v123 quad_perm:[3,3,3,3] row_mask:0xf bank_mask:0xf// 000000007A14: 0BF6F6FA FF00FFFE
	v_mul_f32_dpp v252, v255, v124 quad_perm:[0,0,0,0] row_mask:0xf bank_mask:0xf// 000000007A1C: 0BF8F8FA FF0000FF
	v_mul_f32_dpp v253, v255, v125 quad_perm:[1,1,1,1] row_mask:0xf bank_mask:0xf// 000000007A24: 0BFAFAFA FF0055FF
	v_mul_f32_dpp v254, v255, v126 quad_perm:[2,2,2,2] row_mask:0xf bank_mask:0xf// 000000007A2C: 0BFCFCFA FF00AAFF
	v_mul_f32_dpp v255, v255, v127 quad_perm:[3,3,3,3] row_mask:0xf bank_mask:0xf// 000000007A34: 0BFEFEFA FF00FFFF
	v_mov_b32_e32 v48, 0x358637bd                              // 000000007A3C: 7E6002FF 358637BD
	v_max3_f32 v48, |v240|, |v241|, v48                        // 000000007A44: D1D30330 04C3E3F0
	v_max3_f32 v48, |v242|, |v243|, v48                        // 000000007A4C: D1D30330 04C3E7F2
	v_max3_f32 v48, |v244|, |v245|, v48                        // 000000007A54: D1D30330 04C3EBF4
	v_max3_f32 v48, |v246|, |v247|, v48                        // 000000007A5C: D1D30330 04C3EFF6
	v_max3_f32 v48, |v248|, |v249|, v48                        // 000000007A64: D1D30330 04C3F3F8
	v_max3_f32 v48, |v250|, |v251|, v48                        // 000000007A6C: D1D30330 04C3F7FA
	v_max3_f32 v48, |v252|, |v253|, v48                        // 000000007A74: D1D30330 04C3FBFC
	v_max3_f32 v48, |v254|, |v255|, v48                        // 000000007A7C: D1D30330 04C3FFFE
	buffer_load_dwordx4 a[108:111], v37, s[20:23], 0 offen     // 000000007A84: E05C1000 80856C25
	ds_write_b32 v8, v48 offset:20992                          // 000000007A8C: D81A5200 00003008
	v_sub_f32_e32 v49, v11, v15                                // 000000007A94: 04621F0B
	v_cndmask_b32_e64 v49, v49, 0, s[40:41]                    // 000000007A98: D1000031 00A10131
	v_mov_b32_e32 v11, v15                                     // 000000007AA0: 7E16030F
	v_mul_f32_e32 v49, s64, v49                                // 000000007AA4: 0A626240
	v_exp_f32_e32 v49, v49                                     // 000000007AA8: 7E624131
	s_waitcnt lgkmcnt(0)                                       // 000000007AAC: BF8CC07F
	s_barrier                                                  // 000000007AB0: BF8A0000
	ds_read_b32 v64, v7 offset:20992                           // 000000007AB4: D86C5200 40000007
	ds_read_b32 v65, v7 offset:21056                           // 000000007ABC: D86C5240 41000007
	ds_read_b32 v66, v7 offset:21120                           // 000000007AC4: D86C5280 42000007
	ds_read_b32 v67, v7 offset:21184                           // 000000007ACC: D86C52C0 43000007
	ds_read_b32 v68, v7 offset:21248                           // 000000007AD4: D86C5300 44000007
	ds_read_b32 v69, v7 offset:21312                           // 000000007ADC: D86C5340 45000007
	ds_read_b32 v70, v7 offset:21376                           // 000000007AE4: D86C5380 46000007
	ds_read_b32 v71, v7 offset:21440                           // 000000007AEC: D86C53C0 47000007
	ds_read_b32 v72, v7 offset:21504                           // 000000007AF4: D86C5400 48000007
	ds_read_b32 v73, v7 offset:21568                           // 000000007AFC: D86C5440 49000007
	ds_read_b32 v74, v7 offset:21632                           // 000000007B04: D86C5480 4A000007
	ds_read_b32 v75, v7 offset:21696                           // 000000007B0C: D86C54C0 4B000007
	ds_read_b32 v76, v7 offset:21760                           // 000000007B14: D86C5500 4C000007
	ds_read_b32 v77, v7 offset:21824                           // 000000007B1C: D86C5540 4D000007
	ds_read_b32 v78, v7 offset:21888                           // 000000007B24: D86C5580 4E000007
	ds_read_b32 v79, v7 offset:21952                           // 000000007B2C: D86C55C0 4F000007
	v_mul_f32_e32 v38, v49, v38                                // 000000007B34: 0A4C4D31
	v_mov_b32_e32 v15, v112                                    // 000000007B38: 7E1E0370
	v_add_f32_e32 v15, v113, v15                               // 000000007B3C: 021E1F71
	v_add_f32_e32 v15, v114, v15                               // 000000007B40: 021E1F72
	v_add_f32_e32 v15, v115, v15                               // 000000007B44: 021E1F73
	v_add_f32_e32 v15, v116, v15                               // 000000007B48: 021E1F74
	v_add_f32_e32 v15, v117, v15                               // 000000007B4C: 021E1F75
	v_add_f32_e32 v15, v118, v15                               // 000000007B50: 021E1F76
	v_add_f32_e32 v15, v119, v15                               // 000000007B54: 021E1F77
	v_add_f32_e32 v15, v120, v15                               // 000000007B58: 021E1F78
	v_add_f32_e32 v15, v121, v15                               // 000000007B5C: 021E1F79
	v_add_f32_e32 v15, v122, v15                               // 000000007B60: 021E1F7A
	v_add_f32_e32 v15, v123, v15                               // 000000007B64: 021E1F7B
	v_add_f32_e32 v15, v124, v15                               // 000000007B68: 021E1F7C
	v_add_f32_e32 v15, v125, v15                               // 000000007B6C: 021E1F7D
	v_add_f32_e32 v15, v126, v15                               // 000000007B70: 021E1F7E
	v_add_f32_e32 v15, v127, v15                               // 000000007B74: 021E1F7F
	v_add_f32_e32 v38, v15, v38                                // 000000007B78: 024C4D0F
	s_waitcnt lgkmcnt(0)                                       // 000000007B7C: BF8CC07F
	v_max3_f32 v48, |v64|, |v65|, v48                          // 000000007B80: D1D30330 04C28340
	v_max3_f32 v48, |v66|, |v67|, v48                          // 000000007B88: D1D30330 04C28742
	v_max3_f32 v48, |v68|, |v69|, v48                          // 000000007B90: D1D30330 04C28B44
	v_max3_f32 v48, |v70|, |v71|, v48                          // 000000007B98: D1D30330 04C28F46
	v_max3_f32 v48, |v72|, |v73|, v48                          // 000000007BA0: D1D30330 04C29348
	v_max3_f32 v48, |v74|, |v75|, v48                          // 000000007BA8: D1D30330 04C2974A
	v_max3_f32 v48, |v76|, |v77|, v48                          // 000000007BB0: D1D30330 04C29B4C
	v_max3_f32 v48, |v78|, |v79|, v48                          // 000000007BB8: D1D30330 04C29F4E
	s_nop 2                                                    // 000000007BC0: BF800002
	v_rcp_f32_e32 v48, v48                                     // 000000007BC4: 7E604530
	s_nop 1                                                    // 000000007BC8: BF800001
	v_mul_f32_e32 v48, 0x42fe0000, v48                         // 000000007BCC: 0A6060FF 42FE0000
	v_mul_f32_e32 v112, v48, v240                              // 000000007BD4: 0AE1E130
	v_mul_f32_e32 v113, v48, v241                              // 000000007BD8: 0AE3E330
	v_mul_f32_e32 v114, v48, v242                              // 000000007BDC: 0AE5E530
	v_mul_f32_e32 v115, v48, v243                              // 000000007BE0: 0AE7E730
	v_mul_f32_e32 v116, v48, v244                              // 000000007BE4: 0AE9E930
	v_mul_f32_e32 v117, v48, v245                              // 000000007BE8: 0AEBEB30
	v_mul_f32_e32 v118, v48, v246                              // 000000007BEC: 0AEDED30
	v_mul_f32_e32 v119, v48, v247                              // 000000007BF0: 0AEFEF30
	v_mul_f32_e32 v120, v48, v248                              // 000000007BF4: 0AF1F130
	v_mul_f32_e32 v121, v48, v249                              // 000000007BF8: 0AF3F330
	v_mul_f32_e32 v122, v48, v250                              // 000000007BFC: 0AF5F530
	v_mul_f32_e32 v123, v48, v251                              // 000000007C00: 0AF7F730
	v_mul_f32_e32 v124, v48, v252                              // 000000007C04: 0AF9F930
	v_mul_f32_e32 v125, v48, v253                              // 000000007C08: 0AFBFB30
	v_mul_f32_e32 v126, v48, v254                              // 000000007C0C: 0AFDFD30
	v_mul_f32_e32 v127, v48, v255                              // 000000007C10: 0AFFFF30
	v_cvt_i32_f32_e32 v112, v112                               // 000000007C14: 7EE01170
	v_cvt_i32_f32_e32 v113, v113                               // 000000007C18: 7EE21171
	v_cvt_i32_f32_e32 v114, v114                               // 000000007C1C: 7EE41172
	v_cvt_i32_f32_e32 v115, v115                               // 000000007C20: 7EE61173
	v_cvt_i32_f32_e32 v116, v116                               // 000000007C24: 7EE81174
	v_cvt_i32_f32_e32 v117, v117                               // 000000007C28: 7EEA1175
	v_cvt_i32_f32_e32 v118, v118                               // 000000007C2C: 7EEC1176
	v_cvt_i32_f32_e32 v119, v119                               // 000000007C30: 7EEE1177
	v_cvt_i32_f32_e32 v120, v120                               // 000000007C34: 7EF01178
	v_cvt_i32_f32_e32 v121, v121                               // 000000007C38: 7EF21179
	v_cvt_i32_f32_e32 v122, v122                               // 000000007C3C: 7EF4117A
	v_cvt_i32_f32_e32 v123, v123                               // 000000007C40: 7EF6117B
	v_cvt_i32_f32_e32 v124, v124                               // 000000007C44: 7EF8117C
	v_cvt_i32_f32_e32 v125, v125                               // 000000007C48: 7EFA117D
	v_cvt_i32_f32_e32 v126, v126                               // 000000007C4C: 7EFC117E
	v_cvt_i32_f32_e32 v127, v127                               // 000000007C50: 7EFE117F
	v_perm_b32 v112, v113, v112, s53                           // 000000007C54: D1ED0070 00D6E171
	v_perm_b32 v112, v114, v112, s54                           // 000000007C5C: D1ED0070 00DAE172
	v_perm_b32 v112, v115, v112, s55                           // 000000007C64: D1ED0070 00DEE173
	v_perm_b32 v113, v117, v116, s53                           // 000000007C6C: D1ED0071 00D6E975
	v_perm_b32 v113, v118, v113, s54                           // 000000007C74: D1ED0071 00DAE376
	v_perm_b32 v113, v119, v113, s55                           // 000000007C7C: D1ED0071 00DEE377
	v_perm_b32 v114, v121, v120, s53                           // 000000007C84: D1ED0072 00D6F179
	v_perm_b32 v114, v122, v114, s54                           // 000000007C8C: D1ED0072 00DAE57A
	v_perm_b32 v114, v123, v114, s55                           // 000000007C94: D1ED0072 00DEE57B
	v_perm_b32 v115, v125, v124, s53                           // 000000007C9C: D1ED0073 00D6F97D
	v_perm_b32 v115, v126, v115, s54                           // 000000007CA4: D1ED0073 00DAE77E
	v_perm_b32 v115, v127, v115, s55                           // 000000007CAC: D1ED0073 00DEE77F
	ds_write_b32 v10, v112 offset:25088                        // 000000007CB4: D81A6200 0000700A
	ds_write_b32 v10, v113 offset:26112                        // 000000007CBC: D81A6600 0000710A
	ds_write_b32 v10, v114 offset:27136                        // 000000007CC4: D81A6A00 0000720A
	ds_write_b32 v10, v115 offset:28160                        // 000000007CCC: D81A6E00 0000730A
	v_add_f32_e32 v208, v208, v176                             // 000000007CD4: 03A161D0
	v_add_f32_e32 v209, v209, v177                             // 000000007CD8: 03A363D1
	v_add_f32_e32 v210, v210, v178                             // 000000007CDC: 03A565D2
	v_add_f32_e32 v211, v211, v179                             // 000000007CE0: 03A767D3
	v_add_f32_e32 v212, v212, v180                             // 000000007CE4: 03A969D4
	v_add_f32_e32 v213, v213, v181                             // 000000007CE8: 03AB6BD5
	v_add_f32_e32 v214, v214, v182                             // 000000007CEC: 03AD6DD6
	v_add_f32_e32 v215, v215, v183                             // 000000007CF0: 03AF6FD7
	v_rcp_f32_e32 v44, v48                                     // 000000007CF4: 7E584530
	s_waitcnt lgkmcnt(0)                                       // 000000007CF8: BF8CC07F
	s_barrier                                                  // 000000007CFC: BF8A0000
	ds_read_b64 v[112:113], v9 offset:25088                    // 000000007D00: D8EC6200 70000009
	ds_read_b64 v[114:115], v9 offset:25216                    // 000000007D08: D8EC6280 72000009
	ds_read_b64 v[116:117], v9 offset:26112                    // 000000007D10: D8EC6600 74000009
	ds_read_b64 v[118:119], v9 offset:26240                    // 000000007D18: D8EC6680 76000009
	ds_read_b64 v[120:121], v9 offset:27136                    // 000000007D20: D8EC6A00 78000009
	ds_read_b64 v[122:123], v9 offset:27264                    // 000000007D28: D8EC6A80 7A000009
	ds_read_b64 v[124:125], v9 offset:28160                    // 000000007D30: D8EC6E00 7C000009
	ds_read_b64 v[126:127], v9 offset:28288                    // 000000007D38: D8EC6E80 7E000009
	v_mov_b32_dpp v64, v42 row_shr:4 row_mask:0xf bank_mask:0xf// 000000007D40: 7E8002FA FF01142A
	v_mov_b32_dpp v65, v42 row_shl:4 row_mask:0xf bank_mask:0xf// 000000007D48: 7E8202FA FF01042A
	v_cndmask_b32_e64 v248, v42, v64, s[44:45]                 // 000000007D50: D10000F8 00B2812A
	v_cndmask_b32_e64 v249, v65, v42, s[44:45]                 // 000000007D58: D10000F9 00B25541
	v_mov_b32_dpp v64, v248 row_shr:8 row_mask:0xf bank_mask:0xf// 000000007D60: 7E8002FA FF0118F8
	v_mov_b32_dpp v65, v248 row_shl:8 row_mask:0xf bank_mask:0xf// 000000007D68: 7E8202FA FF0108F8
	v_mov_b32_dpp v66, v249 row_shr:8 row_mask:0xf bank_mask:0xf// 000000007D70: 7E8402FA FF0118F9
	v_mov_b32_dpp v67, v249 row_shl:8 row_mask:0xf bank_mask:0xf// 000000007D78: 7E8602FA FF0108F9
	v_mov_b32_e32 v68, v248                                    // 000000007D80: 7E8803F8
	v_mov_b32_e32 v69, v249                                    // 000000007D84: 7E8A03F9
	v_cndmask_b32_e64 v248, v68, v64, s[42:43]                 // 000000007D88: D10000F8 00AA8144
	v_cndmask_b32_e64 v250, v68, v65, s[78:79]                 // 000000007D90: D10000FA 013A8344
	v_cndmask_b32_e64 v249, v69, v66, s[42:43]                 // 000000007D98: D10000F9 00AA8545
	v_cndmask_b32_e64 v251, v69, v67, s[78:79]                 // 000000007DA0: D10000FB 013A8745
	v_mov_b32_dpp v64, v57 row_shr:4 row_mask:0xf bank_mask:0xf// 000000007DA8: 7E8002FA FF011439
	v_mov_b32_dpp v65, v57 row_shl:4 row_mask:0xf bank_mask:0xf// 000000007DB0: 7E8202FA FF010439
	v_cndmask_b32_e64 v252, v57, v64, s[44:45]                 // 000000007DB8: D10000FC 00B28139
	v_cndmask_b32_e64 v253, v65, v57, s[44:45]                 // 000000007DC0: D10000FD 00B27341
	v_mov_b32_dpp v64, v252 row_shr:8 row_mask:0xf bank_mask:0xf// 000000007DC8: 7E8002FA FF0118FC
	v_mov_b32_dpp v65, v252 row_shl:8 row_mask:0xf bank_mask:0xf// 000000007DD0: 7E8202FA FF0108FC
	v_mov_b32_dpp v66, v253 row_shr:8 row_mask:0xf bank_mask:0xf// 000000007DD8: 7E8402FA FF0118FD
	v_mov_b32_dpp v67, v253 row_shl:8 row_mask:0xf bank_mask:0xf// 000000007DE0: 7E8602FA FF0108FD
	v_mov_b32_e32 v68, v252                                    // 000000007DE8: 7E8803FC
	v_mov_b32_e32 v69, v253                                    // 000000007DEC: 7E8A03FD
	v_cndmask_b32_e64 v252, v68, v64, s[42:43]                 // 000000007DF0: D10000FC 00AA8144
	v_cndmask_b32_e64 v254, v68, v65, s[78:79]                 // 000000007DF8: D10000FE 013A8344
	v_cndmask_b32_e64 v253, v69, v66, s[42:43]                 // 000000007E00: D10000FD 00AA8545
	v_cndmask_b32_e64 v255, v69, v67, s[78:79]                 // 000000007E08: D10000FF 013A8745
	v_cvt_f32_i32_e32 v128, v128                               // 000000007E10: 7F000B80
	v_cvt_f32_i32_e32 v129, v129                               // 000000007E14: 7F020B81
	v_cvt_f32_i32_e32 v130, v130                               // 000000007E18: 7F040B82
	v_cvt_f32_i32_e32 v131, v131                               // 000000007E1C: 7F060B83
	v_cvt_f32_i32_e32 v132, v132                               // 000000007E20: 7F080B84
	v_cvt_f32_i32_e32 v133, v133                               // 000000007E24: 7F0A0B85
	v_cvt_f32_i32_e32 v134, v134                               // 000000007E28: 7F0C0B86
	v_cvt_f32_i32_e32 v135, v135                               // 000000007E2C: 7F0E0B87
	v_cvt_f32_i32_e32 v136, v136                               // 000000007E30: 7F100B88
	v_cvt_f32_i32_e32 v137, v137                               // 000000007E34: 7F120B89
	v_cvt_f32_i32_e32 v138, v138                               // 000000007E38: 7F140B8A
	v_cvt_f32_i32_e32 v139, v139                               // 000000007E3C: 7F160B8B
	v_cvt_f32_i32_e32 v140, v140                               // 000000007E40: 7F180B8C
	v_cvt_f32_i32_e32 v141, v141                               // 000000007E44: 7F1A0B8D
	v_cvt_f32_i32_e32 v142, v142                               // 000000007E48: 7F1C0B8E
	v_cvt_f32_i32_e32 v143, v143                               // 000000007E4C: 7F1E0B8F
	v_mul_f32_e32 v128, v19, v128                              // 000000007E50: 0B010113
	v_mul_f32_e32 v129, v19, v129                              // 000000007E54: 0B030313
	v_mul_f32_e32 v130, v19, v130                              // 000000007E58: 0B050513
	v_mul_f32_e32 v131, v19, v131                              // 000000007E5C: 0B070713
	v_mul_f32_e32 v132, v19, v132                              // 000000007E60: 0B090913
	v_mul_f32_e32 v133, v19, v133                              // 000000007E64: 0B0B0B13
	v_mul_f32_e32 v134, v19, v134                              // 000000007E68: 0B0D0D13
	v_mul_f32_e32 v135, v19, v135                              // 000000007E6C: 0B0F0F13
	v_mul_f32_e32 v136, v19, v136                              // 000000007E70: 0B111113
	v_mul_f32_e32 v137, v19, v137                              // 000000007E74: 0B131313
	v_mul_f32_e32 v138, v19, v138                              // 000000007E78: 0B151513
	v_mul_f32_e32 v139, v19, v139                              // 000000007E7C: 0B171713
	v_mul_f32_e32 v140, v19, v140                              // 000000007E80: 0B191913
	v_mul_f32_e32 v141, v19, v141                              // 000000007E84: 0B1B1B13
	v_mul_f32_e32 v142, v19, v142                              // 000000007E88: 0B1D1D13
	v_mul_f32_e32 v143, v19, v143                              // 000000007E8C: 0B1F1F13
	v_mul_f32_dpp v128, v248, v128 quad_perm:[0,0,0,0] row_mask:0xf bank_mask:0xf// 000000007E90: 0B0100FA FF0000F8
	v_mul_f32_dpp v129, v248, v129 quad_perm:[1,1,1,1] row_mask:0xf bank_mask:0xf// 000000007E98: 0B0302FA FF0055F8
	v_mul_f32_dpp v130, v248, v130 quad_perm:[2,2,2,2] row_mask:0xf bank_mask:0xf// 000000007EA0: 0B0504FA FF00AAF8
	v_mul_f32_dpp v131, v248, v131 quad_perm:[3,3,3,3] row_mask:0xf bank_mask:0xf// 000000007EA8: 0B0706FA FF00FFF8
	v_mul_f32_dpp v132, v249, v132 quad_perm:[0,0,0,0] row_mask:0xf bank_mask:0xf// 000000007EB0: 0B0908FA FF0000F9
	v_mul_f32_dpp v133, v249, v133 quad_perm:[1,1,1,1] row_mask:0xf bank_mask:0xf// 000000007EB8: 0B0B0AFA FF0055F9
	v_mul_f32_dpp v134, v249, v134 quad_perm:[2,2,2,2] row_mask:0xf bank_mask:0xf// 000000007EC0: 0B0D0CFA FF00AAF9
	v_mul_f32_dpp v135, v249, v135 quad_perm:[3,3,3,3] row_mask:0xf bank_mask:0xf// 000000007EC8: 0B0F0EFA FF00FFF9
	v_mul_f32_dpp v136, v250, v136 quad_perm:[0,0,0,0] row_mask:0xf bank_mask:0xf// 000000007ED0: 0B1110FA FF0000FA
	v_mul_f32_dpp v137, v250, v137 quad_perm:[1,1,1,1] row_mask:0xf bank_mask:0xf// 000000007ED8: 0B1312FA FF0055FA
	v_mul_f32_dpp v138, v250, v138 quad_perm:[2,2,2,2] row_mask:0xf bank_mask:0xf// 000000007EE0: 0B1514FA FF00AAFA
	v_mul_f32_dpp v139, v250, v139 quad_perm:[3,3,3,3] row_mask:0xf bank_mask:0xf// 000000007EE8: 0B1716FA FF00FFFA
	v_mul_f32_dpp v140, v251, v140 quad_perm:[0,0,0,0] row_mask:0xf bank_mask:0xf// 000000007EF0: 0B1918FA FF0000FB
	v_mul_f32_dpp v141, v251, v141 quad_perm:[1,1,1,1] row_mask:0xf bank_mask:0xf// 000000007EF8: 0B1B1AFA FF0055FB
	v_mul_f32_dpp v142, v251, v142 quad_perm:[2,2,2,2] row_mask:0xf bank_mask:0xf// 000000007F00: 0B1D1CFA FF00AAFB
	v_mul_f32_dpp v143, v251, v143 quad_perm:[3,3,3,3] row_mask:0xf bank_mask:0xf// 000000007F08: 0B1F1EFA FF00FFFB
	v_mov_b32_e32 v48, v128                                    // 000000007F10: 7E600380
	v_max3_f32 v48, v128, v129, v48                            // 000000007F14: D1D30030 04C30380
	v_max3_f32 v48, v130, v131, v48                            // 000000007F1C: D1D30030 04C30782
	v_max3_f32 v48, v132, v133, v48                            // 000000007F24: D1D30030 04C30B84
	v_max3_f32 v48, v134, v135, v48                            // 000000007F2C: D1D30030 04C30F86
	v_max3_f32 v48, v136, v137, v48                            // 000000007F34: D1D30030 04C31388
	v_max3_f32 v48, v138, v139, v48                            // 000000007F3C: D1D30030 04C3178A
	v_max3_f32 v48, v140, v141, v48                            // 000000007F44: D1D30030 04C31B8C
	v_max3_f32 v48, v142, v143, v48                            // 000000007F4C: D1D30030 04C31F8E
	ds_write_b32 v8, v48 offset:16896                          // 000000007F54: D81A4200 00003008
	v_mul_f32_e32 v216, v50, v216                              // 000000007F5C: 0BB1B132
	v_mul_f32_e32 v217, v50, v217                              // 000000007F60: 0BB3B332
	v_mul_f32_e32 v218, v50, v218                              // 000000007F64: 0BB5B532
	v_mul_f32_e32 v219, v50, v219                              // 000000007F68: 0BB7B732
	v_mul_f32_e32 v220, v50, v220                              // 000000007F6C: 0BB9B932
	v_mul_f32_e32 v221, v50, v221                              // 000000007F70: 0BBBBB32
	v_mul_f32_e32 v222, v50, v222                              // 000000007F74: 0BBDBD32
	v_mul_f32_e32 v223, v50, v223                              // 000000007F78: 0BBFBF32
	s_waitcnt lgkmcnt(0)                                       // 000000007F7C: BF8CC07F
	s_barrier                                                  // 000000007F80: BF8A0000
	ds_read_b32 v64, v7 offset:16896                           // 000000007F84: D86C4200 40000007
	ds_read_b32 v65, v7 offset:16960                           // 000000007F8C: D86C4240 41000007
	ds_read_b32 v66, v7 offset:17024                           // 000000007F94: D86C4280 42000007
	ds_read_b32 v67, v7 offset:17088                           // 000000007F9C: D86C42C0 43000007
	ds_read_b32 v68, v7 offset:17152                           // 000000007FA4: D86C4300 44000007
	ds_read_b32 v69, v7 offset:17216                           // 000000007FAC: D86C4340 45000007
	ds_read_b32 v70, v7 offset:17280                           // 000000007FB4: D86C4380 46000007
	ds_read_b32 v71, v7 offset:17344                           // 000000007FBC: D86C43C0 47000007
	ds_read_b32 v72, v7 offset:17408                           // 000000007FC4: D86C4400 48000007
	ds_read_b32 v73, v7 offset:17472                           // 000000007FCC: D86C4440 49000007
	ds_read_b32 v74, v7 offset:17536                           // 000000007FD4: D86C4480 4A000007
	ds_read_b32 v75, v7 offset:17600                           // 000000007FDC: D86C44C0 4B000007
	ds_read_b32 v76, v7 offset:17664                           // 000000007FE4: D86C4500 4C000007
	ds_read_b32 v77, v7 offset:17728                           // 000000007FEC: D86C4540 4D000007
	ds_read_b32 v78, v7 offset:17792                           // 000000007FF4: D86C4580 4E000007
	ds_read_b32 v79, v7 offset:17856                           // 000000007FFC: D86C45C0 4F000007
	v_cvt_f32_i32_e32 v184, v184                               // 000000008004: 7F700BB8
	v_cvt_f32_i32_e32 v185, v185                               // 000000008008: 7F720BB9
	v_cvt_f32_i32_e32 v186, v186                               // 00000000800C: 7F740BBA
	v_cvt_f32_i32_e32 v187, v187                               // 000000008010: 7F760BBB
	v_cvt_f32_i32_e32 v188, v188                               // 000000008014: 7F780BBC
	v_cvt_f32_i32_e32 v189, v189                               // 000000008018: 7F7A0BBD
	v_cvt_f32_i32_e32 v190, v190                               // 00000000801C: 7F7C0BBE
	v_cvt_f32_i32_e32 v191, v191                               // 000000008020: 7F7E0BBF
	v_mul_f32_e32 v184, v45, v184                              // 000000008024: 0B71712D
	v_mul_f32_e32 v185, v45, v185                              // 000000008028: 0B73732D
	v_mul_f32_e32 v186, v45, v186                              // 00000000802C: 0B75752D
	v_mul_f32_e32 v187, v45, v187                              // 000000008030: 0B77772D
	v_mul_f32_e32 v188, v45, v188                              // 000000008034: 0B79792D
	v_mul_f32_e32 v189, v45, v189                              // 000000008038: 0B7B7B2D
	v_mul_f32_e32 v190, v45, v190                              // 00000000803C: 0B7D7D2D
	v_mul_f32_e32 v191, v45, v191                              // 000000008040: 0B7F7F2D
	s_waitcnt lgkmcnt(0)                                       // 000000008044: BF8CC07F
	v_max3_f32 v48, v64, v65, v48                              // 000000008048: D1D30030 04C28340
	v_max3_f32 v48, v66, v67, v48                              // 000000008050: D1D30030 04C28742
	v_max3_f32 v48, v68, v69, v48                              // 000000008058: D1D30030 04C28B44
	v_max3_f32 v48, v70, v71, v48                              // 000000008060: D1D30030 04C28F46
	v_max3_f32 v48, v72, v73, v48                              // 000000008068: D1D30030 04C29348
	v_max3_f32 v48, v74, v75, v48                              // 000000008070: D1D30030 04C2974A
	v_max3_f32 v48, v76, v77, v48                              // 000000008078: D1D30030 04C29B4C
	v_max3_f32 v48, v78, v79, v48                              // 000000008080: D1D30030 04C29F4E
	v_mov_b32_e32 v64, 0xff800000                              // 000000008088: 7E8002FF FF800000
	v_cmp_eq_u32_e64 s[40:41], v64, v12                        // 000000008090: D0CA0028 00021940
	s_nop 1                                                    // 000000008098: BF800001
	v_max_f32_e32 v15, v48, v12                                // 00000000809C: 161E1930
	v_mul_f32_e32 v53, s64, v15                                // 0000000080A0: 0A6A1E40
	v_fma_f32 v128, v128, s64, -v53                            // 0000000080A4: D1CB0080 84D48180
	v_fma_f32 v129, v129, s64, -v53                            // 0000000080AC: D1CB0081 84D48181
	v_fma_f32 v130, v130, s64, -v53                            // 0000000080B4: D1CB0082 84D48182
	v_fma_f32 v131, v131, s64, -v53                            // 0000000080BC: D1CB0083 84D48183
	v_fma_f32 v132, v132, s64, -v53                            // 0000000080C4: D1CB0084 84D48184
	v_fma_f32 v133, v133, s64, -v53                            // 0000000080CC: D1CB0085 84D48185
	v_fma_f32 v134, v134, s64, -v53                            // 0000000080D4: D1CB0086 84D48186
	v_fma_f32 v135, v135, s64, -v53                            // 0000000080DC: D1CB0087 84D48187
	v_fma_f32 v136, v136, s64, -v53                            // 0000000080E4: D1CB0088 84D48188
	v_fma_f32 v137, v137, s64, -v53                            // 0000000080EC: D1CB0089 84D48189
	v_fma_f32 v138, v138, s64, -v53                            // 0000000080F4: D1CB008A 84D4818A
	v_fma_f32 v139, v139, s64, -v53                            // 0000000080FC: D1CB008B 84D4818B
	v_fma_f32 v140, v140, s64, -v53                            // 000000008104: D1CB008C 84D4818C
	v_fma_f32 v141, v141, s64, -v53                            // 00000000810C: D1CB008D 84D4818D
	v_fma_f32 v142, v142, s64, -v53                            // 000000008114: D1CB008E 84D4818E
	v_fma_f32 v143, v143, s64, -v53                            // 00000000811C: D1CB008F 84D4818F
	v_exp_f32_e32 v128, v128                                   // 000000008124: 7F004180
	v_exp_f32_e32 v129, v129                                   // 000000008128: 7F024181
	v_exp_f32_e32 v130, v130                                   // 00000000812C: 7F044182
	v_exp_f32_e32 v131, v131                                   // 000000008130: 7F064183
	v_exp_f32_e32 v132, v132                                   // 000000008134: 7F084184
	v_exp_f32_e32 v133, v133                                   // 000000008138: 7F0A4185
	v_exp_f32_e32 v134, v134                                   // 00000000813C: 7F0C4186
	v_exp_f32_e32 v135, v135                                   // 000000008140: 7F0E4187
	v_exp_f32_e32 v136, v136                                   // 000000008144: 7F104188
	v_exp_f32_e32 v137, v137                                   // 000000008148: 7F124189
	v_exp_f32_e32 v138, v138                                   // 00000000814C: 7F14418A
	v_exp_f32_e32 v139, v139                                   // 000000008150: 7F16418B
	v_exp_f32_e32 v140, v140                                   // 000000008154: 7F18418C
	v_exp_f32_e32 v141, v141                                   // 000000008158: 7F1A418D
	v_exp_f32_e32 v142, v142                                   // 00000000815C: 7F1C418E
	v_exp_f32_e32 v143, v143                                   // 000000008160: 7F1E418F
	v_mul_f32_dpp v240, v252, v128 quad_perm:[0,0,0,0] row_mask:0xf bank_mask:0xf// 000000008164: 0BE100FA FF0000FC
	v_mul_f32_dpp v241, v252, v129 quad_perm:[1,1,1,1] row_mask:0xf bank_mask:0xf// 00000000816C: 0BE302FA FF0055FC
	v_mul_f32_dpp v242, v252, v130 quad_perm:[2,2,2,2] row_mask:0xf bank_mask:0xf// 000000008174: 0BE504FA FF00AAFC
	v_mul_f32_dpp v243, v252, v131 quad_perm:[3,3,3,3] row_mask:0xf bank_mask:0xf// 00000000817C: 0BE706FA FF00FFFC
	v_mul_f32_dpp v244, v253, v132 quad_perm:[0,0,0,0] row_mask:0xf bank_mask:0xf// 000000008184: 0BE908FA FF0000FD
	v_mul_f32_dpp v245, v253, v133 quad_perm:[1,1,1,1] row_mask:0xf bank_mask:0xf// 00000000818C: 0BEB0AFA FF0055FD
	v_mul_f32_dpp v246, v253, v134 quad_perm:[2,2,2,2] row_mask:0xf bank_mask:0xf// 000000008194: 0BED0CFA FF00AAFD
	v_mul_f32_dpp v247, v253, v135 quad_perm:[3,3,3,3] row_mask:0xf bank_mask:0xf// 00000000819C: 0BEF0EFA FF00FFFD
	v_mul_f32_dpp v248, v254, v136 quad_perm:[0,0,0,0] row_mask:0xf bank_mask:0xf// 0000000081A4: 0BF110FA FF0000FE
	v_mul_f32_dpp v249, v254, v137 quad_perm:[1,1,1,1] row_mask:0xf bank_mask:0xf// 0000000081AC: 0BF312FA FF0055FE
	v_mul_f32_dpp v250, v254, v138 quad_perm:[2,2,2,2] row_mask:0xf bank_mask:0xf// 0000000081B4: 0BF514FA FF00AAFE
	v_mul_f32_dpp v251, v254, v139 quad_perm:[3,3,3,3] row_mask:0xf bank_mask:0xf// 0000000081BC: 0BF716FA FF00FFFE
	v_mul_f32_dpp v252, v255, v140 quad_perm:[0,0,0,0] row_mask:0xf bank_mask:0xf// 0000000081C4: 0BF918FA FF0000FF
	v_mul_f32_dpp v253, v255, v141 quad_perm:[1,1,1,1] row_mask:0xf bank_mask:0xf// 0000000081CC: 0BFB1AFA FF0055FF
	v_mul_f32_dpp v254, v255, v142 quad_perm:[2,2,2,2] row_mask:0xf bank_mask:0xf// 0000000081D4: 0BFD1CFA FF00AAFF
	v_mul_f32_dpp v255, v255, v143 quad_perm:[3,3,3,3] row_mask:0xf bank_mask:0xf// 0000000081DC: 0BFF1EFA FF00FFFF
	v_mov_b32_e32 v48, 0x358637bd                              // 0000000081E4: 7E6002FF 358637BD
	v_max3_f32 v48, |v240|, |v241|, v48                        // 0000000081EC: D1D30330 04C3E3F0
	v_max3_f32 v48, |v242|, |v243|, v48                        // 0000000081F4: D1D30330 04C3E7F2
	v_max3_f32 v48, |v244|, |v245|, v48                        // 0000000081FC: D1D30330 04C3EBF4
	v_max3_f32 v48, |v246|, |v247|, v48                        // 000000008204: D1D30330 04C3EFF6
	v_max3_f32 v48, |v248|, |v249|, v48                        // 00000000820C: D1D30330 04C3F3F8
	v_max3_f32 v48, |v250|, |v251|, v48                        // 000000008214: D1D30330 04C3F7FA
	v_max3_f32 v48, |v252|, |v253|, v48                        // 00000000821C: D1D30330 04C3FBFC
	v_max3_f32 v48, |v254|, |v255|, v48                        // 000000008224: D1D30330 04C3FFFE
	ds_write_b32 v8, v48 offset:20992                          // 00000000822C: D81A5200 00003008
	v_sub_f32_e32 v50, v12, v15                                // 000000008234: 04641F0C
	v_cndmask_b32_e64 v50, v50, 0, s[40:41]                    // 000000008238: D1000032 00A10132
	v_mov_b32_e32 v12, v15                                     // 000000008240: 7E18030F
	v_mul_f32_e32 v50, s64, v50                                // 000000008244: 0A646440
	v_exp_f32_e32 v50, v50                                     // 000000008248: 7E644132
	s_waitcnt lgkmcnt(0)                                       // 00000000824C: BF8CC07F
	s_barrier                                                  // 000000008250: BF8A0000
	ds_read_b32 v64, v7 offset:20992                           // 000000008254: D86C5200 40000007
	ds_read_b32 v65, v7 offset:21056                           // 00000000825C: D86C5240 41000007
	ds_read_b32 v66, v7 offset:21120                           // 000000008264: D86C5280 42000007
	ds_read_b32 v67, v7 offset:21184                           // 00000000826C: D86C52C0 43000007
	ds_read_b32 v68, v7 offset:21248                           // 000000008274: D86C5300 44000007
	ds_read_b32 v69, v7 offset:21312                           // 00000000827C: D86C5340 45000007
	ds_read_b32 v70, v7 offset:21376                           // 000000008284: D86C5380 46000007
	ds_read_b32 v71, v7 offset:21440                           // 00000000828C: D86C53C0 47000007
	ds_read_b32 v72, v7 offset:21504                           // 000000008294: D86C5400 48000007
	ds_read_b32 v73, v7 offset:21568                           // 00000000829C: D86C5440 49000007
	ds_read_b32 v74, v7 offset:21632                           // 0000000082A4: D86C5480 4A000007
	ds_read_b32 v75, v7 offset:21696                           // 0000000082AC: D86C54C0 4B000007
	ds_read_b32 v76, v7 offset:21760                           // 0000000082B4: D86C5500 4C000007
	ds_read_b32 v77, v7 offset:21824                           // 0000000082BC: D86C5540 4D000007
	ds_read_b32 v78, v7 offset:21888                           // 0000000082C4: D86C5580 4E000007
	ds_read_b32 v79, v7 offset:21952                           // 0000000082CC: D86C55C0 4F000007
	v_mul_f32_e32 v39, v50, v39                                // 0000000082D4: 0A4E4F32
	v_mov_b32_e32 v15, v128                                    // 0000000082D8: 7E1E0380
	v_add_f32_e32 v15, v129, v15                               // 0000000082DC: 021E1F81
	v_add_f32_e32 v15, v130, v15                               // 0000000082E0: 021E1F82
	v_add_f32_e32 v15, v131, v15                               // 0000000082E4: 021E1F83
	v_add_f32_e32 v15, v132, v15                               // 0000000082E8: 021E1F84
	v_add_f32_e32 v15, v133, v15                               // 0000000082EC: 021E1F85
	v_add_f32_e32 v15, v134, v15                               // 0000000082F0: 021E1F86
	v_add_f32_e32 v15, v135, v15                               // 0000000082F4: 021E1F87
	v_add_f32_e32 v15, v136, v15                               // 0000000082F8: 021E1F88
	v_add_f32_e32 v15, v137, v15                               // 0000000082FC: 021E1F89
	v_add_f32_e32 v15, v138, v15                               // 000000008300: 021E1F8A
	v_add_f32_e32 v15, v139, v15                               // 000000008304: 021E1F8B
	v_add_f32_e32 v15, v140, v15                               // 000000008308: 021E1F8C
	v_add_f32_e32 v15, v141, v15                               // 00000000830C: 021E1F8D
	v_add_f32_e32 v15, v142, v15                               // 000000008310: 021E1F8E
	v_add_f32_e32 v15, v143, v15                               // 000000008314: 021E1F8F
	v_add_f32_e32 v39, v15, v39                                // 000000008318: 024E4F0F
	s_waitcnt lgkmcnt(0)                                       // 00000000831C: BF8CC07F
	v_max3_f32 v48, |v64|, |v65|, v48                          // 000000008320: D1D30330 04C28340
	v_max3_f32 v48, |v66|, |v67|, v48                          // 000000008328: D1D30330 04C28742
	v_max3_f32 v48, |v68|, |v69|, v48                          // 000000008330: D1D30330 04C28B44
	v_max3_f32 v48, |v70|, |v71|, v48                          // 000000008338: D1D30330 04C28F46
	v_max3_f32 v48, |v72|, |v73|, v48                          // 000000008340: D1D30330 04C29348
	v_max3_f32 v48, |v74|, |v75|, v48                          // 000000008348: D1D30330 04C2974A
	v_max3_f32 v48, |v76|, |v77|, v48                          // 000000008350: D1D30330 04C29B4C
	v_max3_f32 v48, |v78|, |v79|, v48                          // 000000008358: D1D30330 04C29F4E
	s_nop 2                                                    // 000000008360: BF800002
	v_rcp_f32_e32 v48, v48                                     // 000000008364: 7E604530
	s_nop 1                                                    // 000000008368: BF800001
	v_mul_f32_e32 v48, 0x42fe0000, v48                         // 00000000836C: 0A6060FF 42FE0000
	v_mul_f32_e32 v128, v48, v240                              // 000000008374: 0B01E130
	v_mul_f32_e32 v129, v48, v241                              // 000000008378: 0B03E330
	v_mul_f32_e32 v130, v48, v242                              // 00000000837C: 0B05E530
	v_mul_f32_e32 v131, v48, v243                              // 000000008380: 0B07E730
	v_mul_f32_e32 v132, v48, v244                              // 000000008384: 0B09E930
	v_mul_f32_e32 v133, v48, v245                              // 000000008388: 0B0BEB30
	v_mul_f32_e32 v134, v48, v246                              // 00000000838C: 0B0DED30
	v_mul_f32_e32 v135, v48, v247                              // 000000008390: 0B0FEF30
	v_mul_f32_e32 v136, v48, v248                              // 000000008394: 0B11F130
	v_mul_f32_e32 v137, v48, v249                              // 000000008398: 0B13F330
	v_mul_f32_e32 v138, v48, v250                              // 00000000839C: 0B15F530
	v_mul_f32_e32 v139, v48, v251                              // 0000000083A0: 0B17F730
	v_mul_f32_e32 v140, v48, v252                              // 0000000083A4: 0B19F930
	v_mul_f32_e32 v141, v48, v253                              // 0000000083A8: 0B1BFB30
	v_mul_f32_e32 v142, v48, v254                              // 0000000083AC: 0B1DFD30
	v_mul_f32_e32 v143, v48, v255                              // 0000000083B0: 0B1FFF30
	v_cvt_i32_f32_e32 v128, v128                               // 0000000083B4: 7F001180
	v_cvt_i32_f32_e32 v129, v129                               // 0000000083B8: 7F021181
	v_cvt_i32_f32_e32 v130, v130                               // 0000000083BC: 7F041182
	v_cvt_i32_f32_e32 v131, v131                               // 0000000083C0: 7F061183
	v_cvt_i32_f32_e32 v132, v132                               // 0000000083C4: 7F081184
	v_cvt_i32_f32_e32 v133, v133                               // 0000000083C8: 7F0A1185
	v_cvt_i32_f32_e32 v134, v134                               // 0000000083CC: 7F0C1186
	v_cvt_i32_f32_e32 v135, v135                               // 0000000083D0: 7F0E1187
	v_cvt_i32_f32_e32 v136, v136                               // 0000000083D4: 7F101188
	v_cvt_i32_f32_e32 v137, v137                               // 0000000083D8: 7F121189
	v_cvt_i32_f32_e32 v138, v138                               // 0000000083DC: 7F14118A
	v_cvt_i32_f32_e32 v139, v139                               // 0000000083E0: 7F16118B
	v_cvt_i32_f32_e32 v140, v140                               // 0000000083E4: 7F18118C
	v_cvt_i32_f32_e32 v141, v141                               // 0000000083E8: 7F1A118D
	v_cvt_i32_f32_e32 v142, v142                               // 0000000083EC: 7F1C118E
	v_cvt_i32_f32_e32 v143, v143                               // 0000000083F0: 7F1E118F
	v_perm_b32 v128, v129, v128, s53                           // 0000000083F4: D1ED0080 00D70181
	v_perm_b32 v128, v130, v128, s54                           // 0000000083FC: D1ED0080 00DB0182
	v_perm_b32 v128, v131, v128, s55                           // 000000008404: D1ED0080 00DF0183
	v_perm_b32 v129, v133, v132, s53                           // 00000000840C: D1ED0081 00D70985
	v_perm_b32 v129, v134, v129, s54                           // 000000008414: D1ED0081 00DB0386
	v_perm_b32 v129, v135, v129, s55                           // 00000000841C: D1ED0081 00DF0387
	v_perm_b32 v130, v137, v136, s53                           // 000000008424: D1ED0082 00D71189
	v_perm_b32 v130, v138, v130, s54                           // 00000000842C: D1ED0082 00DB058A
	v_perm_b32 v130, v139, v130, s55                           // 000000008434: D1ED0082 00DF058B
	v_perm_b32 v131, v141, v140, s53                           // 00000000843C: D1ED0083 00D7198D
	v_perm_b32 v131, v142, v131, s54                           // 000000008444: D1ED0083 00DB078E
	v_perm_b32 v131, v143, v131, s55                           // 00000000844C: D1ED0083 00DF078F
	ds_write_b32 v10, v128 offset:29184                        // 000000008454: D81A7200 0000800A
	ds_write_b32 v10, v129 offset:30208                        // 00000000845C: D81A7600 0000810A
	ds_write_b32 v10, v130 offset:31232                        // 000000008464: D81A7A00 0000820A
	ds_write_b32 v10, v131 offset:32256                        // 00000000846C: D81A7E00 0000830A
	v_add_f32_e32 v216, v216, v184                             // 000000008474: 03B171D8
	v_add_f32_e32 v217, v217, v185                             // 000000008478: 03B373D9
	v_add_f32_e32 v218, v218, v186                             // 00000000847C: 03B575DA
	v_add_f32_e32 v219, v219, v187                             // 000000008480: 03B777DB
	v_add_f32_e32 v220, v220, v188                             // 000000008484: 03B979DC
	v_add_f32_e32 v221, v221, v189                             // 000000008488: 03BB7BDD
	v_add_f32_e32 v222, v222, v190                             // 00000000848C: 03BD7DDE
	v_add_f32_e32 v223, v223, v191                             // 000000008490: 03BF7FDF
	v_rcp_f32_e32 v45, v48                                     // 000000008494: 7E5A4530
	s_waitcnt lgkmcnt(0)                                       // 000000008498: BF8CC07F
	s_barrier                                                  // 00000000849C: BF8A0000
	ds_read_b64 v[128:129], v9 offset:29184                    // 0000000084A0: D8EC7200 80000009
	ds_read_b64 v[130:131], v9 offset:29312                    // 0000000084A8: D8EC7280 82000009
	ds_read_b64 v[132:133], v9 offset:30208                    // 0000000084B0: D8EC7600 84000009
	ds_read_b64 v[134:135], v9 offset:30336                    // 0000000084B8: D8EC7680 86000009
	ds_read_b64 v[136:137], v9 offset:31232                    // 0000000084C0: D8EC7A00 88000009
	ds_read_b64 v[138:139], v9 offset:31360                    // 0000000084C8: D8EC7A80 8A000009
	ds_read_b64 v[140:141], v9 offset:32256                    // 0000000084D0: D8EC7E00 8C000009
	ds_read_b64 v[142:143], v9 offset:32384                    // 0000000084D8: D8EC7E80 8E000009
	s_waitcnt vmcnt(15)                                        // 0000000084E0: BF8C0F7F
	v_mfma_i32_16x16x32_i8 v[176:179], a[64:65], v[112:113], 0 // 0000000084E4: D3D700B0 0A02E140
	v_mfma_i32_16x16x32_i8 v[176:179], a[66:67], v[114:115], v[176:179]// 0000000084EC: D3D700B0 0EC2E542
	buffer_load_dwordx4 a[112:115], v34, s[20:23], 0 offen offset:1024// 0000000084F4: E05C1400 80857022
	v_mfma_i32_16x16x32_i8 v[176:179], a[68:69], v[116:117], v[176:179]// 0000000084FC: D3D700B0 0EC2E944
	v_mfma_i32_16x16x32_i8 v[176:179], a[70:71], v[118:119], v[176:179]// 000000008504: D3D700B0 0EC2ED46
	v_mfma_i32_16x16x32_i8 v[176:179], a[72:73], v[120:121], v[176:179]// 00000000850C: D3D700B0 0EC2F148
	v_mfma_i32_16x16x32_i8 v[176:179], a[74:75], v[122:123], v[176:179]// 000000008514: D3D700B0 0EC2F54A
	buffer_load_dwordx4 a[116:119], v35, s[20:23], 0 offen offset:1024// 00000000851C: E05C1400 80857423
	v_mfma_i32_16x16x32_i8 v[176:179], a[76:77], v[124:125], v[176:179]// 000000008524: D3D700B0 0EC2F94C
	v_mfma_i32_16x16x32_i8 v[176:179], a[78:79], v[126:127], v[176:179]// 00000000852C: D3D700B0 0EC2FD4E
	v_mfma_i32_16x16x32_i8 v[180:183], a[80:81], v[112:113], 0 // 000000008534: D3D700B4 0A02E150
	v_mfma_i32_16x16x32_i8 v[180:183], a[82:83], v[114:115], v[180:183]// 00000000853C: D3D700B4 0ED2E552
	buffer_load_dwordx4 a[120:123], v36, s[20:23], 0 offen offset:1024// 000000008544: E05C1400 80857824
	v_mfma_i32_16x16x32_i8 v[180:183], a[84:85], v[116:117], v[180:183]// 00000000854C: D3D700B4 0ED2E954
	v_mfma_i32_16x16x32_i8 v[180:183], a[86:87], v[118:119], v[180:183]// 000000008554: D3D700B4 0ED2ED56
	v_mfma_i32_16x16x32_i8 v[180:183], a[88:89], v[120:121], v[180:183]// 00000000855C: D3D700B4 0ED2F158
	v_mfma_i32_16x16x32_i8 v[180:183], a[90:91], v[122:123], v[180:183]// 000000008564: D3D700B4 0ED2F55A
	buffer_load_dwordx4 a[124:127], v37, s[20:23], 0 offen offset:1024// 00000000856C: E05C1400 80857C25
	v_mfma_i32_16x16x32_i8 v[180:183], a[92:93], v[124:125], v[180:183]// 000000008574: D3D700B4 0ED2F95C
	s_lshr_b32 s57, s70, 4                                     // 00000000857C: 8F398446
	s_add_u32 s57, 48, s57                                     // 000000008580: 803939B0
	v_mfma_i32_16x16x32_i8 v[180:183], a[94:95], v[126:127], v[180:183]// 000000008584: D3D700B4 0ED2FD5E
	s_cmp_ge_u32 s57, s73                                      // 00000000858C: BF094939
	s_cselect_b32 s56, 0, s56                                  // 000000008590: 85383880
	v_mfma_i32_16x16x32_i8 v[184:187], a[64:65], v[128:129], 0 // 000000008594: D3D700B8 0A030140
	v_mfma_i32_16x16x32_i8 v[184:187], a[66:67], v[130:131], v[184:187]// 00000000859C: D3D700B8 0EE30542
	v_mfma_i32_16x16x32_i8 v[184:187], a[68:69], v[132:133], v[184:187]// 0000000085A4: D3D700B8 0EE30944
	v_mfma_i32_16x16x32_i8 v[184:187], a[70:71], v[134:135], v[184:187]// 0000000085AC: D3D700B8 0EE30D46
	v_mfma_i32_16x16x32_i8 v[184:187], a[72:73], v[136:137], v[184:187]// 0000000085B4: D3D700B8 0EE31148
	v_mfma_i32_16x16x32_i8 v[184:187], a[74:75], v[138:139], v[184:187]// 0000000085BC: D3D700B8 0EE3154A
	v_mfma_i32_16x16x32_i8 v[184:187], a[76:77], v[140:141], v[184:187]// 0000000085C4: D3D700B8 0EE3194C
	v_mfma_i32_16x16x32_i8 v[184:187], a[78:79], v[142:143], v[184:187]// 0000000085CC: D3D700B8 0EE31D4E
	v_mfma_i32_16x16x32_i8 v[188:191], a[80:81], v[128:129], 0 // 0000000085D4: D3D700BC 0A030150
	v_mfma_i32_16x16x32_i8 v[188:191], a[82:83], v[130:131], v[188:191]// 0000000085DC: D3D700BC 0EF30552
	v_mfma_i32_16x16x32_i8 v[188:191], a[84:85], v[132:133], v[188:191]// 0000000085E4: D3D700BC 0EF30954
	v_mfma_i32_16x16x32_i8 v[188:191], a[86:87], v[134:135], v[188:191]// 0000000085EC: D3D700BC 0EF30D56
	v_mfma_i32_16x16x32_i8 v[188:191], a[88:89], v[136:137], v[188:191]// 0000000085F4: D3D700BC 0EF31158
	v_mfma_i32_16x16x32_i8 v[188:191], a[90:91], v[138:139], v[188:191]// 0000000085FC: D3D700BC 0EF3155A
	v_mfma_i32_16x16x32_i8 v[188:191], a[92:93], v[140:141], v[188:191]// 000000008604: D3D700BC 0EF3195C
	v_mfma_i32_16x16x32_i8 v[188:191], a[94:95], v[142:143], v[188:191]// 00000000860C: D3D700BC 0EF31D5E
	v_add_u32_e32 v1, s56, v1                                  // 000000008614: 68020238
	s_addk_i32 s70, 0x100                                      // 000000008618: B7460100
	s_cmp_lt_i32 s70, s71                                      // 00000000861C: BF044746
	s_cbranch_scc0 label_1DA8                                  // 000000008620: BF84049F
	s_waitcnt vmcnt(8) lgkmcnt(0)                              // 000000008624: BF8C0078
	v_mul_u32_u24_dpp v64, v16, v54 row_newbcast:0 row_mask:0xf bank_mask:0xf// 000000008628: 10806CFA FF015010
	v_mul_u32_u24_dpp v65, v16, v54 row_newbcast:4 row_mask:0xf bank_mask:0xf// 000000008630: 10826CFA FF015410
	v_mul_u32_u24_dpp v66, v16, v54 row_newbcast:8 row_mask:0xf bank_mask:0xf// 000000008638: 10846CFA FF015810
	v_mul_u32_u24_dpp v67, v16, v54 row_newbcast:12 row_mask:0xf bank_mask:0xf// 000000008640: 10866CFA FF015C10
	v_add_u32_e32 v22, v64, v5                                 // 000000008648: 682C0B40
	v_add_u32_e32 v23, v65, v5                                 // 00000000864C: 682E0B41
	v_add_u32_e32 v24, v66, v5                                 // 000000008650: 68300B42
	v_add_u32_e32 v25, v67, v5                                 // 000000008654: 68320B43
	v_mul_u32_u24_dpp v64, v16, v63 quad_perm:[0,0,0,0] row_mask:0xf bank_mask:0xf// 000000008658: 10807EFA FF000010
	v_add_u32_e32 v2, v64, v59                                 // 000000008660: 68047740
	v_mul_u32_u24_dpp v64, v16, v63 quad_perm:[0,0,0,0] row_mask:0xf bank_mask:0xf// 000000008664: 10807EFA FF000010
	v_add_u32_e32 v55, v64, v60                                // 00000000866C: 686E7940
	v_mfma_i32_16x16x32_i8 v[112:115], a[32:33], v[80:81], 0   // 000000008670: D3D70070 0A02A120
	v_mfma_i32_16x16x32_i8 v[112:115], a[34:35], v[82:83], v[112:115]// 000000008678: D3D70070 0DC2A522
	buffer_load_dwordx4 a[0:3], v22, s[16:19], 0 offen         // 000000008680: E05C1000 80840016
	v_mfma_i32_16x16x32_i8 v[112:115], a[36:37], v[84:85], v[112:115]// 000000008688: D3D70070 0DC2A924
	v_mfma_i32_16x16x32_i8 v[112:115], a[38:39], v[86:87], v[112:115]// 000000008690: D3D70070 0DC2AD26
	buffer_load_dword v17, v1, s[24:27], 0 offen               // 000000008698: E0501000 80061101
	v_mfma_i32_16x16x32_i8 v[116:119], a[40:41], v[80:81], 0   // 0000000086A0: D3D70074 0A02A128
	v_mfma_i32_16x16x32_i8 v[116:119], a[42:43], v[82:83], v[116:119]// 0000000086A8: D3D70074 0DD2A52A
	buffer_load_dwordx4 a[4:7], v22, s[16:19], 0 offen offset:1024// 0000000086B0: E05C1400 80840416
	v_mfma_i32_16x16x32_i8 v[116:119], a[44:45], v[84:85], v[116:119]// 0000000086B8: D3D70074 0DD2A92C
	v_mfma_i32_16x16x32_i8 v[116:119], a[46:47], v[86:87], v[116:119]// 0000000086C0: D3D70074 0DD2AD2E
	v_mfma_i32_16x16x32_i8 v[120:123], a[48:49], v[80:81], 0   // 0000000086C8: D3D70078 0A02A130
	v_mfma_i32_16x16x32_i8 v[120:123], a[50:51], v[82:83], v[120:123]// 0000000086D0: D3D70078 0DE2A532
	buffer_load_dwordx4 a[8:11], v23, s[16:19], 0 offen        // 0000000086D8: E05C1000 80840817
	v_mfma_i32_16x16x32_i8 v[120:123], a[52:53], v[84:85], v[120:123]// 0000000086E0: D3D70078 0DE2A934
	v_mfma_i32_16x16x32_i8 v[120:123], a[54:55], v[86:87], v[120:123]// 0000000086E8: D3D70078 0DE2AD36
	v_mfma_i32_16x16x32_i8 v[124:127], a[56:57], v[80:81], 0   // 0000000086F0: D3D7007C 0A02A138
	v_mfma_i32_16x16x32_i8 v[124:127], a[58:59], v[82:83], v[124:127]// 0000000086F8: D3D7007C 0DF2A53A
	buffer_load_dwordx4 a[12:15], v23, s[16:19], 0 offen offset:1024// 000000008700: E05C1400 80840C17
	v_mfma_i32_16x16x32_i8 v[124:127], a[60:61], v[84:85], v[124:127]// 000000008708: D3D7007C 0DF2A93C
	v_mfma_i32_16x16x32_i8 v[124:127], a[62:63], v[86:87], v[124:127]// 000000008710: D3D7007C 0DF2AD3E
	v_mfma_i32_16x16x32_i8 v[128:131], a[32:33], v[88:89], 0   // 000000008718: D3D70080 0A02B120
	v_mfma_i32_16x16x32_i8 v[128:131], a[34:35], v[90:91], v[128:131]// 000000008720: D3D70080 0E02B522
	v_mfma_i32_16x16x32_i8 v[128:131], a[36:37], v[92:93], v[128:131]// 000000008728: D3D70080 0E02B924
	v_mfma_i32_16x16x32_i8 v[128:131], a[38:39], v[94:95], v[128:131]// 000000008730: D3D70080 0E02BD26
	v_mfma_i32_16x16x32_i8 v[132:135], a[40:41], v[88:89], 0   // 000000008738: D3D70084 0A02B128
	v_mfma_i32_16x16x32_i8 v[132:135], a[42:43], v[90:91], v[132:135]// 000000008740: D3D70084 0E12B52A
	v_mfma_i32_16x16x32_i8 v[132:135], a[44:45], v[92:93], v[132:135]// 000000008748: D3D70084 0E12B92C
	v_mfma_i32_16x16x32_i8 v[132:135], a[46:47], v[94:95], v[132:135]// 000000008750: D3D70084 0E12BD2E
	v_mfma_i32_16x16x32_i8 v[136:139], a[48:49], v[88:89], 0   // 000000008758: D3D70088 0A02B130
	v_mfma_i32_16x16x32_i8 v[136:139], a[50:51], v[90:91], v[136:139]// 000000008760: D3D70088 0E22B532
	v_mfma_i32_16x16x32_i8 v[136:139], a[52:53], v[92:93], v[136:139]// 000000008768: D3D70088 0E22B934
	v_mfma_i32_16x16x32_i8 v[136:139], a[54:55], v[94:95], v[136:139]// 000000008770: D3D70088 0E22BD36
	v_mfma_i32_16x16x32_i8 v[140:143], a[56:57], v[88:89], 0   // 000000008778: D3D7008C 0A02B138
	v_mfma_i32_16x16x32_i8 v[140:143], a[58:59], v[90:91], v[140:143]// 000000008780: D3D7008C 0E32B53A
	v_mfma_i32_16x16x32_i8 v[140:143], a[60:61], v[92:93], v[140:143]// 000000008788: D3D7008C 0E32B93C
	v_mfma_i32_16x16x32_i8 v[140:143], a[62:63], v[94:95], v[140:143]// 000000008790: D3D7008C 0E32BD3E
	buffer_load_dword v42, v2, s[32:35], 0 offen               // 000000008798: E0501000 80082A02
	v_mov_b32_dpp v64, v43 row_shr:4 row_mask:0xf bank_mask:0xf// 0000000087A0: 7E8002FA FF01142B
	v_mov_b32_dpp v65, v43 row_shl:4 row_mask:0xf bank_mask:0xf// 0000000087A8: 7E8202FA FF01042B
	v_cndmask_b32_e64 v248, v43, v64, s[44:45]                 // 0000000087B0: D10000F8 00B2812B
	v_cndmask_b32_e64 v249, v65, v43, s[44:45]                 // 0000000087B8: D10000F9 00B25741
	v_mov_b32_dpp v64, v248 row_shr:8 row_mask:0xf bank_mask:0xf// 0000000087C0: 7E8002FA FF0118F8
	v_mov_b32_dpp v65, v248 row_shl:8 row_mask:0xf bank_mask:0xf// 0000000087C8: 7E8202FA FF0108F8
	v_mov_b32_dpp v66, v249 row_shr:8 row_mask:0xf bank_mask:0xf// 0000000087D0: 7E8402FA FF0118F9
	v_mov_b32_dpp v67, v249 row_shl:8 row_mask:0xf bank_mask:0xf// 0000000087D8: 7E8602FA FF0108F9
	v_mov_b32_e32 v68, v248                                    // 0000000087E0: 7E8803F8
	v_mov_b32_e32 v69, v249                                    // 0000000087E4: 7E8A03F9
	v_cndmask_b32_e64 v248, v68, v64, s[42:43]                 // 0000000087E8: D10000F8 00AA8144
	v_cndmask_b32_e64 v250, v68, v65, s[78:79]                 // 0000000087F0: D10000FA 013A8344
	v_cndmask_b32_e64 v249, v69, v66, s[42:43]                 // 0000000087F8: D10000F9 00AA8545
	v_cndmask_b32_e64 v251, v69, v67, s[78:79]                 // 000000008800: D10000FB 013A8745
	v_mov_b32_dpp v64, v58 row_shr:4 row_mask:0xf bank_mask:0xf// 000000008808: 7E8002FA FF01143A
	v_mov_b32_dpp v65, v58 row_shl:4 row_mask:0xf bank_mask:0xf// 000000008810: 7E8202FA FF01043A
	v_cndmask_b32_e64 v252, v58, v64, s[44:45]                 // 000000008818: D10000FC 00B2813A
	v_cndmask_b32_e64 v253, v65, v58, s[44:45]                 // 000000008820: D10000FD 00B27541
	v_mov_b32_dpp v64, v252 row_shr:8 row_mask:0xf bank_mask:0xf// 000000008828: 7E8002FA FF0118FC
	v_mov_b32_dpp v65, v252 row_shl:8 row_mask:0xf bank_mask:0xf// 000000008830: 7E8202FA FF0108FC
	v_mov_b32_dpp v66, v253 row_shr:8 row_mask:0xf bank_mask:0xf// 000000008838: 7E8402FA FF0118FD
	v_mov_b32_dpp v67, v253 row_shl:8 row_mask:0xf bank_mask:0xf// 000000008840: 7E8602FA FF0108FD
	v_mov_b32_e32 v68, v252                                    // 000000008848: 7E8803FC
	v_mov_b32_e32 v69, v253                                    // 00000000884C: 7E8A03FD
	v_cndmask_b32_e64 v252, v68, v64, s[42:43]                 // 000000008850: D10000FC 00AA8144
	v_cndmask_b32_e64 v254, v68, v65, s[78:79]                 // 000000008858: D10000FE 013A8344
	v_cndmask_b32_e64 v253, v69, v66, s[42:43]                 // 000000008860: D10000FD 00AA8545
	v_cndmask_b32_e64 v255, v69, v67, s[78:79]                 // 000000008868: D10000FF 013A8745
	buffer_load_dword v57, v55, s[36:39], 0 offen              // 000000008870: E0501000 80093937
	v_cvt_f32_i32_e32 v112, v112                               // 000000008878: 7EE00B70
	v_cvt_f32_i32_e32 v113, v113                               // 00000000887C: 7EE20B71
	v_cvt_f32_i32_e32 v114, v114                               // 000000008880: 7EE40B72
	v_cvt_f32_i32_e32 v115, v115                               // 000000008884: 7EE60B73
	v_cvt_f32_i32_e32 v116, v116                               // 000000008888: 7EE80B74
	v_cvt_f32_i32_e32 v117, v117                               // 00000000888C: 7EEA0B75
	v_cvt_f32_i32_e32 v118, v118                               // 000000008890: 7EEC0B76
	v_cvt_f32_i32_e32 v119, v119                               // 000000008894: 7EEE0B77
	v_cvt_f32_i32_e32 v120, v120                               // 000000008898: 7EF00B78
	v_cvt_f32_i32_e32 v121, v121                               // 00000000889C: 7EF20B79
	v_cvt_f32_i32_e32 v122, v122                               // 0000000088A0: 7EF40B7A
	v_cvt_f32_i32_e32 v123, v123                               // 0000000088A4: 7EF60B7B
	v_cvt_f32_i32_e32 v124, v124                               // 0000000088A8: 7EF80B7C
	v_cvt_f32_i32_e32 v125, v125                               // 0000000088AC: 7EFA0B7D
	v_cvt_f32_i32_e32 v126, v126                               // 0000000088B0: 7EFC0B7E
	v_cvt_f32_i32_e32 v127, v127                               // 0000000088B4: 7EFE0B7F
	v_mul_f32_e32 v112, v18, v112                              // 0000000088B8: 0AE0E112
	v_mul_f32_e32 v113, v18, v113                              // 0000000088BC: 0AE2E312
	v_mul_f32_e32 v114, v18, v114                              // 0000000088C0: 0AE4E512
	v_mul_f32_e32 v115, v18, v115                              // 0000000088C4: 0AE6E712
	v_mul_f32_e32 v116, v18, v116                              // 0000000088C8: 0AE8E912
	v_mul_f32_e32 v117, v18, v117                              // 0000000088CC: 0AEAEB12
	v_mul_f32_e32 v118, v18, v118                              // 0000000088D0: 0AECED12
	v_mul_f32_e32 v119, v18, v119                              // 0000000088D4: 0AEEEF12
	v_mul_f32_e32 v120, v18, v120                              // 0000000088D8: 0AF0F112
	v_mul_f32_e32 v121, v18, v121                              // 0000000088DC: 0AF2F312
	v_mul_f32_e32 v122, v18, v122                              // 0000000088E0: 0AF4F512
	v_mul_f32_e32 v123, v18, v123                              // 0000000088E4: 0AF6F712
	v_mul_f32_e32 v124, v18, v124                              // 0000000088E8: 0AF8F912
	v_mul_f32_e32 v125, v18, v125                              // 0000000088EC: 0AFAFB12
	v_mul_f32_e32 v126, v18, v126                              // 0000000088F0: 0AFCFD12
	v_mul_f32_e32 v127, v18, v127                              // 0000000088F4: 0AFEFF12
	buffer_load_dwordx4 a[16:19], v24, s[16:19], 0 offen       // 0000000088F8: E05C1000 80841018
	v_mul_f32_dpp v112, v248, v112 quad_perm:[0,0,0,0] row_mask:0xf bank_mask:0xf// 000000008900: 0AE0E0FA FF0000F8
	v_mul_f32_dpp v113, v248, v113 quad_perm:[1,1,1,1] row_mask:0xf bank_mask:0xf// 000000008908: 0AE2E2FA FF0055F8
	v_mul_f32_dpp v114, v248, v114 quad_perm:[2,2,2,2] row_mask:0xf bank_mask:0xf// 000000008910: 0AE4E4FA FF00AAF8
	v_mul_f32_dpp v115, v248, v115 quad_perm:[3,3,3,3] row_mask:0xf bank_mask:0xf// 000000008918: 0AE6E6FA FF00FFF8
	v_mul_f32_dpp v116, v249, v116 quad_perm:[0,0,0,0] row_mask:0xf bank_mask:0xf// 000000008920: 0AE8E8FA FF0000F9
	v_mul_f32_dpp v117, v249, v117 quad_perm:[1,1,1,1] row_mask:0xf bank_mask:0xf// 000000008928: 0AEAEAFA FF0055F9
	v_mul_f32_dpp v118, v249, v118 quad_perm:[2,2,2,2] row_mask:0xf bank_mask:0xf// 000000008930: 0AECECFA FF00AAF9
	v_mul_f32_dpp v119, v249, v119 quad_perm:[3,3,3,3] row_mask:0xf bank_mask:0xf// 000000008938: 0AEEEEFA FF00FFF9
	v_mul_f32_dpp v120, v250, v120 quad_perm:[0,0,0,0] row_mask:0xf bank_mask:0xf// 000000008940: 0AF0F0FA FF0000FA
	v_mul_f32_dpp v121, v250, v121 quad_perm:[1,1,1,1] row_mask:0xf bank_mask:0xf// 000000008948: 0AF2F2FA FF0055FA
	v_mul_f32_dpp v122, v250, v122 quad_perm:[2,2,2,2] row_mask:0xf bank_mask:0xf// 000000008950: 0AF4F4FA FF00AAFA
	v_mul_f32_dpp v123, v250, v123 quad_perm:[3,3,3,3] row_mask:0xf bank_mask:0xf// 000000008958: 0AF6F6FA FF00FFFA
	v_mul_f32_dpp v124, v251, v124 quad_perm:[0,0,0,0] row_mask:0xf bank_mask:0xf// 000000008960: 0AF8F8FA FF0000FB
	v_mul_f32_dpp v125, v251, v125 quad_perm:[1,1,1,1] row_mask:0xf bank_mask:0xf// 000000008968: 0AFAFAFA FF0055FB
	v_mul_f32_dpp v126, v251, v126 quad_perm:[2,2,2,2] row_mask:0xf bank_mask:0xf// 000000008970: 0AFCFCFA FF00AAFB
	v_mul_f32_dpp v127, v251, v127 quad_perm:[3,3,3,3] row_mask:0xf bank_mask:0xf// 000000008978: 0AFEFEFA FF00FFFB
	buffer_load_dwordx4 a[20:23], v24, s[16:19], 0 offen offset:1024// 000000008980: E05C1400 80841418
	v_mov_b32_e32 v48, v112                                    // 000000008988: 7E600370
	v_max3_f32 v48, v112, v113, v48                            // 00000000898C: D1D30030 04C2E370
	v_max3_f32 v48, v114, v115, v48                            // 000000008994: D1D30030 04C2E772
	v_max3_f32 v48, v116, v117, v48                            // 00000000899C: D1D30030 04C2EB74
	v_max3_f32 v48, v118, v119, v48                            // 0000000089A4: D1D30030 04C2EF76
	v_max3_f32 v48, v120, v121, v48                            // 0000000089AC: D1D30030 04C2F378
	v_max3_f32 v48, v122, v123, v48                            // 0000000089B4: D1D30030 04C2F77A
	v_max3_f32 v48, v124, v125, v48                            // 0000000089BC: D1D30030 04C2FB7C
	v_max3_f32 v48, v126, v127, v48                            // 0000000089C4: D1D30030 04C2FF7E
	ds_write_b32 v8, v48 offset:16896                          // 0000000089CC: D81A4200 00003008
	buffer_load_dwordx4 a[24:27], v25, s[16:19], 0 offen       // 0000000089D4: E05C1000 80841819
	v_mul_u32_u24_dpp v64, v16, v54 row_newbcast:1 row_mask:0xf bank_mask:0xf// 0000000089DC: 10806CFA FF015110
	v_mul_u32_u24_dpp v65, v16, v54 row_newbcast:5 row_mask:0xf bank_mask:0xf// 0000000089E4: 10826CFA FF015510
	v_mul_u32_u24_dpp v66, v16, v54 row_newbcast:9 row_mask:0xf bank_mask:0xf// 0000000089EC: 10846CFA FF015910
	v_mul_u32_u24_dpp v67, v16, v54 row_newbcast:13 row_mask:0xf bank_mask:0xf// 0000000089F4: 10866CFA FF015D10
	v_add_u32_e32 v30, v64, v6                                 // 0000000089FC: 683C0D40
	v_add_u32_e32 v31, v65, v6                                 // 000000008A00: 683E0D41
	v_add_u32_e32 v32, v66, v6                                 // 000000008A04: 68400D42
	v_add_u32_e32 v33, v67, v6                                 // 000000008A08: 68420D43
	v_mul_f32_e32 v208, v49, v208                              // 000000008A0C: 0BA1A131
	v_mul_f32_e32 v209, v49, v209                              // 000000008A10: 0BA3A331
	v_mul_f32_e32 v210, v49, v210                              // 000000008A14: 0BA5A531
	v_mul_f32_e32 v211, v49, v211                              // 000000008A18: 0BA7A731
	v_mul_f32_e32 v212, v49, v212                              // 000000008A1C: 0BA9A931
	v_mul_f32_e32 v213, v49, v213                              // 000000008A20: 0BABAB31
	v_mul_f32_e32 v214, v49, v214                              // 000000008A24: 0BADAD31
	v_mul_f32_e32 v215, v49, v215                              // 000000008A28: 0BAFAF31
	s_waitcnt lgkmcnt(0)                                       // 000000008A2C: BF8CC07F
	s_barrier                                                  // 000000008A30: BF8A0000
	ds_read_b32 v64, v7 offset:16896                           // 000000008A34: D86C4200 40000007
	ds_read_b32 v65, v7 offset:16960                           // 000000008A3C: D86C4240 41000007
	ds_read_b32 v66, v7 offset:17024                           // 000000008A44: D86C4280 42000007
	ds_read_b32 v67, v7 offset:17088                           // 000000008A4C: D86C42C0 43000007
	ds_read_b32 v68, v7 offset:17152                           // 000000008A54: D86C4300 44000007
	ds_read_b32 v69, v7 offset:17216                           // 000000008A5C: D86C4340 45000007
	ds_read_b32 v70, v7 offset:17280                           // 000000008A64: D86C4380 46000007
	ds_read_b32 v71, v7 offset:17344                           // 000000008A6C: D86C43C0 47000007
	ds_read_b32 v72, v7 offset:17408                           // 000000008A74: D86C4400 48000007
	ds_read_b32 v73, v7 offset:17472                           // 000000008A7C: D86C4440 49000007
	ds_read_b32 v74, v7 offset:17536                           // 000000008A84: D86C4480 4A000007
	ds_read_b32 v75, v7 offset:17600                           // 000000008A8C: D86C44C0 4B000007
	ds_read_b32 v76, v7 offset:17664                           // 000000008A94: D86C4500 4C000007
	ds_read_b32 v77, v7 offset:17728                           // 000000008A9C: D86C4540 4D000007
	ds_read_b32 v78, v7 offset:17792                           // 000000008AA4: D86C4580 4E000007
	ds_read_b32 v79, v7 offset:17856                           // 000000008AAC: D86C45C0 4F000007
	buffer_load_dwordx4 a[28:31], v25, s[16:19], 0 offen offset:1024// 000000008AB4: E05C1400 80841C19
	v_cvt_f32_i32_e32 v176, v176                               // 000000008ABC: 7F600BB0
	v_cvt_f32_i32_e32 v177, v177                               // 000000008AC0: 7F620BB1
	v_cvt_f32_i32_e32 v178, v178                               // 000000008AC4: 7F640BB2
	v_cvt_f32_i32_e32 v179, v179                               // 000000008AC8: 7F660BB3
	v_cvt_f32_i32_e32 v180, v180                               // 000000008ACC: 7F680BB4
	v_cvt_f32_i32_e32 v181, v181                               // 000000008AD0: 7F6A0BB5
	v_cvt_f32_i32_e32 v182, v182                               // 000000008AD4: 7F6C0BB6
	v_cvt_f32_i32_e32 v183, v183                               // 000000008AD8: 7F6E0BB7
	v_mul_f32_e32 v176, v44, v176                              // 000000008ADC: 0B61612C
	v_mul_f32_e32 v177, v44, v177                              // 000000008AE0: 0B63632C
	v_mul_f32_e32 v178, v44, v178                              // 000000008AE4: 0B65652C
	v_mul_f32_e32 v179, v44, v179                              // 000000008AE8: 0B67672C
	v_mul_f32_e32 v180, v44, v180                              // 000000008AEC: 0B69692C
	v_mul_f32_e32 v181, v44, v181                              // 000000008AF0: 0B6B6B2C
	v_mul_f32_e32 v182, v44, v182                              // 000000008AF4: 0B6D6D2C
	v_mul_f32_e32 v183, v44, v183                              // 000000008AF8: 0B6F6F2C
	s_waitcnt lgkmcnt(0)                                       // 000000008AFC: BF8CC07F
	v_max3_f32 v48, v64, v65, v48                              // 000000008B00: D1D30030 04C28340
	v_max3_f32 v48, v66, v67, v48                              // 000000008B08: D1D30030 04C28742
	v_max3_f32 v48, v68, v69, v48                              // 000000008B10: D1D30030 04C28B44
	v_max3_f32 v48, v70, v71, v48                              // 000000008B18: D1D30030 04C28F46
	v_max3_f32 v48, v72, v73, v48                              // 000000008B20: D1D30030 04C29348
	v_max3_f32 v48, v74, v75, v48                              // 000000008B28: D1D30030 04C2974A
	v_max3_f32 v48, v76, v77, v48                              // 000000008B30: D1D30030 04C29B4C
	v_max3_f32 v48, v78, v79, v48                              // 000000008B38: D1D30030 04C29F4E
	buffer_load_dwordx4 a[64:67], v30, s[20:23], 0 offen       // 000000008B40: E05C1000 8085401E
	v_mov_b32_e32 v64, 0xff800000                              // 000000008B48: 7E8002FF FF800000
	v_cmp_eq_u32_e64 s[40:41], v64, v11                        // 000000008B50: D0CA0028 00021740
	s_nop 1                                                    // 000000008B58: BF800001
	v_max_f32_e32 v15, v48, v11                                // 000000008B5C: 161E1730
	v_mul_f32_e32 v53, s64, v15                                // 000000008B60: 0A6A1E40
	v_fma_f32 v112, v112, s64, -v53                            // 000000008B64: D1CB0070 84D48170
	v_fma_f32 v113, v113, s64, -v53                            // 000000008B6C: D1CB0071 84D48171
	v_fma_f32 v114, v114, s64, -v53                            // 000000008B74: D1CB0072 84D48172
	v_fma_f32 v115, v115, s64, -v53                            // 000000008B7C: D1CB0073 84D48173
	v_fma_f32 v116, v116, s64, -v53                            // 000000008B84: D1CB0074 84D48174
	v_fma_f32 v117, v117, s64, -v53                            // 000000008B8C: D1CB0075 84D48175
	v_fma_f32 v118, v118, s64, -v53                            // 000000008B94: D1CB0076 84D48176
	v_fma_f32 v119, v119, s64, -v53                            // 000000008B9C: D1CB0077 84D48177
	v_fma_f32 v120, v120, s64, -v53                            // 000000008BA4: D1CB0078 84D48178
	v_fma_f32 v121, v121, s64, -v53                            // 000000008BAC: D1CB0079 84D48179
	v_fma_f32 v122, v122, s64, -v53                            // 000000008BB4: D1CB007A 84D4817A
	v_fma_f32 v123, v123, s64, -v53                            // 000000008BBC: D1CB007B 84D4817B
	v_fma_f32 v124, v124, s64, -v53                            // 000000008BC4: D1CB007C 84D4817C
	v_fma_f32 v125, v125, s64, -v53                            // 000000008BCC: D1CB007D 84D4817D
	v_fma_f32 v126, v126, s64, -v53                            // 000000008BD4: D1CB007E 84D4817E
	v_fma_f32 v127, v127, s64, -v53                            // 000000008BDC: D1CB007F 84D4817F
	buffer_load_dwordx4 a[68:71], v31, s[20:23], 0 offen       // 000000008BE4: E05C1000 8085441F
	v_exp_f32_e32 v112, v112                                   // 000000008BEC: 7EE04170
	v_exp_f32_e32 v113, v113                                   // 000000008BF0: 7EE24171
	v_exp_f32_e32 v114, v114                                   // 000000008BF4: 7EE44172
	v_exp_f32_e32 v115, v115                                   // 000000008BF8: 7EE64173
	v_exp_f32_e32 v116, v116                                   // 000000008BFC: 7EE84174
	v_exp_f32_e32 v117, v117                                   // 000000008C00: 7EEA4175
	v_exp_f32_e32 v118, v118                                   // 000000008C04: 7EEC4176
	v_exp_f32_e32 v119, v119                                   // 000000008C08: 7EEE4177
	v_exp_f32_e32 v120, v120                                   // 000000008C0C: 7EF04178
	v_exp_f32_e32 v121, v121                                   // 000000008C10: 7EF24179
	v_exp_f32_e32 v122, v122                                   // 000000008C14: 7EF4417A
	v_exp_f32_e32 v123, v123                                   // 000000008C18: 7EF6417B
	v_exp_f32_e32 v124, v124                                   // 000000008C1C: 7EF8417C
	v_exp_f32_e32 v125, v125                                   // 000000008C20: 7EFA417D
	v_exp_f32_e32 v126, v126                                   // 000000008C24: 7EFC417E
	v_exp_f32_e32 v127, v127                                   // 000000008C28: 7EFE417F
	buffer_load_dwordx4 a[72:75], v32, s[20:23], 0 offen       // 000000008C2C: E05C1000 80854820
	v_mul_f32_dpp v240, v252, v112 quad_perm:[0,0,0,0] row_mask:0xf bank_mask:0xf// 000000008C34: 0BE0E0FA FF0000FC
	v_mul_f32_dpp v241, v252, v113 quad_perm:[1,1,1,1] row_mask:0xf bank_mask:0xf// 000000008C3C: 0BE2E2FA FF0055FC
	v_mul_f32_dpp v242, v252, v114 quad_perm:[2,2,2,2] row_mask:0xf bank_mask:0xf// 000000008C44: 0BE4E4FA FF00AAFC
	v_mul_f32_dpp v243, v252, v115 quad_perm:[3,3,3,3] row_mask:0xf bank_mask:0xf// 000000008C4C: 0BE6E6FA FF00FFFC
	v_mul_f32_dpp v244, v253, v116 quad_perm:[0,0,0,0] row_mask:0xf bank_mask:0xf// 000000008C54: 0BE8E8FA FF0000FD
	v_mul_f32_dpp v245, v253, v117 quad_perm:[1,1,1,1] row_mask:0xf bank_mask:0xf// 000000008C5C: 0BEAEAFA FF0055FD
	v_mul_f32_dpp v246, v253, v118 quad_perm:[2,2,2,2] row_mask:0xf bank_mask:0xf// 000000008C64: 0BECECFA FF00AAFD
	v_mul_f32_dpp v247, v253, v119 quad_perm:[3,3,3,3] row_mask:0xf bank_mask:0xf// 000000008C6C: 0BEEEEFA FF00FFFD
	v_mul_f32_dpp v248, v254, v120 quad_perm:[0,0,0,0] row_mask:0xf bank_mask:0xf// 000000008C74: 0BF0F0FA FF0000FE
	v_mul_f32_dpp v249, v254, v121 quad_perm:[1,1,1,1] row_mask:0xf bank_mask:0xf// 000000008C7C: 0BF2F2FA FF0055FE
	v_mul_f32_dpp v250, v254, v122 quad_perm:[2,2,2,2] row_mask:0xf bank_mask:0xf// 000000008C84: 0BF4F4FA FF00AAFE
	v_mul_f32_dpp v251, v254, v123 quad_perm:[3,3,3,3] row_mask:0xf bank_mask:0xf// 000000008C8C: 0BF6F6FA FF00FFFE
	v_mul_f32_dpp v252, v255, v124 quad_perm:[0,0,0,0] row_mask:0xf bank_mask:0xf// 000000008C94: 0BF8F8FA FF0000FF
	v_mul_f32_dpp v253, v255, v125 quad_perm:[1,1,1,1] row_mask:0xf bank_mask:0xf// 000000008C9C: 0BFAFAFA FF0055FF
	v_mul_f32_dpp v254, v255, v126 quad_perm:[2,2,2,2] row_mask:0xf bank_mask:0xf// 000000008CA4: 0BFCFCFA FF00AAFF
	v_mul_f32_dpp v255, v255, v127 quad_perm:[3,3,3,3] row_mask:0xf bank_mask:0xf// 000000008CAC: 0BFEFEFA FF00FFFF
	v_mov_b32_e32 v48, 0x358637bd                              // 000000008CB4: 7E6002FF 358637BD
	v_max3_f32 v48, |v240|, |v241|, v48                        // 000000008CBC: D1D30330 04C3E3F0
	v_max3_f32 v48, |v242|, |v243|, v48                        // 000000008CC4: D1D30330 04C3E7F2
	v_max3_f32 v48, |v244|, |v245|, v48                        // 000000008CCC: D1D30330 04C3EBF4
	v_max3_f32 v48, |v246|, |v247|, v48                        // 000000008CD4: D1D30330 04C3EFF6
	v_max3_f32 v48, |v248|, |v249|, v48                        // 000000008CDC: D1D30330 04C3F3F8
	v_max3_f32 v48, |v250|, |v251|, v48                        // 000000008CE4: D1D30330 04C3F7FA
	v_max3_f32 v48, |v252|, |v253|, v48                        // 000000008CEC: D1D30330 04C3FBFC
	v_max3_f32 v48, |v254|, |v255|, v48                        // 000000008CF4: D1D30330 04C3FFFE
	buffer_load_dwordx4 a[76:79], v33, s[20:23], 0 offen       // 000000008CFC: E05C1000 80854C21
	ds_write_b32 v8, v48 offset:20992                          // 000000008D04: D81A5200 00003008
	v_sub_f32_e32 v49, v11, v15                                // 000000008D0C: 04621F0B
	v_cndmask_b32_e64 v49, v49, 0, s[40:41]                    // 000000008D10: D1000031 00A10131
	v_mov_b32_e32 v11, v15                                     // 000000008D18: 7E16030F
	v_mul_f32_e32 v49, s64, v49                                // 000000008D1C: 0A626240
	v_exp_f32_e32 v49, v49                                     // 000000008D20: 7E624131
	s_waitcnt lgkmcnt(0)                                       // 000000008D24: BF8CC07F
	s_barrier                                                  // 000000008D28: BF8A0000
	ds_read_b32 v64, v7 offset:20992                           // 000000008D2C: D86C5200 40000007
	ds_read_b32 v65, v7 offset:21056                           // 000000008D34: D86C5240 41000007
	ds_read_b32 v66, v7 offset:21120                           // 000000008D3C: D86C5280 42000007
	ds_read_b32 v67, v7 offset:21184                           // 000000008D44: D86C52C0 43000007
	ds_read_b32 v68, v7 offset:21248                           // 000000008D4C: D86C5300 44000007
	ds_read_b32 v69, v7 offset:21312                           // 000000008D54: D86C5340 45000007
	ds_read_b32 v70, v7 offset:21376                           // 000000008D5C: D86C5380 46000007
	ds_read_b32 v71, v7 offset:21440                           // 000000008D64: D86C53C0 47000007
	ds_read_b32 v72, v7 offset:21504                           // 000000008D6C: D86C5400 48000007
	ds_read_b32 v73, v7 offset:21568                           // 000000008D74: D86C5440 49000007
	ds_read_b32 v74, v7 offset:21632                           // 000000008D7C: D86C5480 4A000007
	ds_read_b32 v75, v7 offset:21696                           // 000000008D84: D86C54C0 4B000007
	ds_read_b32 v76, v7 offset:21760                           // 000000008D8C: D86C5500 4C000007
	ds_read_b32 v77, v7 offset:21824                           // 000000008D94: D86C5540 4D000007
	ds_read_b32 v78, v7 offset:21888                           // 000000008D9C: D86C5580 4E000007
	ds_read_b32 v79, v7 offset:21952                           // 000000008DA4: D86C55C0 4F000007
	v_mul_f32_e32 v38, v49, v38                                // 000000008DAC: 0A4C4D31
	v_mov_b32_e32 v15, v112                                    // 000000008DB0: 7E1E0370
	v_add_f32_e32 v15, v113, v15                               // 000000008DB4: 021E1F71
	v_add_f32_e32 v15, v114, v15                               // 000000008DB8: 021E1F72
	v_add_f32_e32 v15, v115, v15                               // 000000008DBC: 021E1F73
	v_add_f32_e32 v15, v116, v15                               // 000000008DC0: 021E1F74
	v_add_f32_e32 v15, v117, v15                               // 000000008DC4: 021E1F75
	v_add_f32_e32 v15, v118, v15                               // 000000008DC8: 021E1F76
	v_add_f32_e32 v15, v119, v15                               // 000000008DCC: 021E1F77
	v_add_f32_e32 v15, v120, v15                               // 000000008DD0: 021E1F78
	v_add_f32_e32 v15, v121, v15                               // 000000008DD4: 021E1F79
	v_add_f32_e32 v15, v122, v15                               // 000000008DD8: 021E1F7A
	v_add_f32_e32 v15, v123, v15                               // 000000008DDC: 021E1F7B
	v_add_f32_e32 v15, v124, v15                               // 000000008DE0: 021E1F7C
	v_add_f32_e32 v15, v125, v15                               // 000000008DE4: 021E1F7D
	v_add_f32_e32 v15, v126, v15                               // 000000008DE8: 021E1F7E
	v_add_f32_e32 v15, v127, v15                               // 000000008DEC: 021E1F7F
	v_add_f32_e32 v38, v15, v38                                // 000000008DF0: 024C4D0F
	s_waitcnt lgkmcnt(0)                                       // 000000008DF4: BF8CC07F
	v_max3_f32 v48, |v64|, |v65|, v48                          // 000000008DF8: D1D30330 04C28340
	v_max3_f32 v48, |v66|, |v67|, v48                          // 000000008E00: D1D30330 04C28742
	v_max3_f32 v48, |v68|, |v69|, v48                          // 000000008E08: D1D30330 04C28B44
	v_max3_f32 v48, |v70|, |v71|, v48                          // 000000008E10: D1D30330 04C28F46
	v_max3_f32 v48, |v72|, |v73|, v48                          // 000000008E18: D1D30330 04C29348
	v_max3_f32 v48, |v74|, |v75|, v48                          // 000000008E20: D1D30330 04C2974A
	v_max3_f32 v48, |v76|, |v77|, v48                          // 000000008E28: D1D30330 04C29B4C
	v_max3_f32 v48, |v78|, |v79|, v48                          // 000000008E30: D1D30330 04C29F4E
	s_nop 2                                                    // 000000008E38: BF800002
	v_rcp_f32_e32 v48, v48                                     // 000000008E3C: 7E604530
	s_nop 1                                                    // 000000008E40: BF800001
	v_mul_f32_e32 v48, 0x42fe0000, v48                         // 000000008E44: 0A6060FF 42FE0000
	v_mul_f32_e32 v112, v48, v240                              // 000000008E4C: 0AE1E130
	v_mul_f32_e32 v113, v48, v241                              // 000000008E50: 0AE3E330
	v_mul_f32_e32 v114, v48, v242                              // 000000008E54: 0AE5E530
	v_mul_f32_e32 v115, v48, v243                              // 000000008E58: 0AE7E730
	v_mul_f32_e32 v116, v48, v244                              // 000000008E5C: 0AE9E930
	v_mul_f32_e32 v117, v48, v245                              // 000000008E60: 0AEBEB30
	v_mul_f32_e32 v118, v48, v246                              // 000000008E64: 0AEDED30
	v_mul_f32_e32 v119, v48, v247                              // 000000008E68: 0AEFEF30
	v_mul_f32_e32 v120, v48, v248                              // 000000008E6C: 0AF1F130
	v_mul_f32_e32 v121, v48, v249                              // 000000008E70: 0AF3F330
	v_mul_f32_e32 v122, v48, v250                              // 000000008E74: 0AF5F530
	v_mul_f32_e32 v123, v48, v251                              // 000000008E78: 0AF7F730
	v_mul_f32_e32 v124, v48, v252                              // 000000008E7C: 0AF9F930
	v_mul_f32_e32 v125, v48, v253                              // 000000008E80: 0AFBFB30
	v_mul_f32_e32 v126, v48, v254                              // 000000008E84: 0AFDFD30
	v_mul_f32_e32 v127, v48, v255                              // 000000008E88: 0AFFFF30
	v_cvt_i32_f32_e32 v112, v112                               // 000000008E8C: 7EE01170
	v_cvt_i32_f32_e32 v113, v113                               // 000000008E90: 7EE21171
	v_cvt_i32_f32_e32 v114, v114                               // 000000008E94: 7EE41172
	v_cvt_i32_f32_e32 v115, v115                               // 000000008E98: 7EE61173
	v_cvt_i32_f32_e32 v116, v116                               // 000000008E9C: 7EE81174
	v_cvt_i32_f32_e32 v117, v117                               // 000000008EA0: 7EEA1175
	v_cvt_i32_f32_e32 v118, v118                               // 000000008EA4: 7EEC1176
	v_cvt_i32_f32_e32 v119, v119                               // 000000008EA8: 7EEE1177
	v_cvt_i32_f32_e32 v120, v120                               // 000000008EAC: 7EF01178
	v_cvt_i32_f32_e32 v121, v121                               // 000000008EB0: 7EF21179
	v_cvt_i32_f32_e32 v122, v122                               // 000000008EB4: 7EF4117A
	v_cvt_i32_f32_e32 v123, v123                               // 000000008EB8: 7EF6117B
	v_cvt_i32_f32_e32 v124, v124                               // 000000008EBC: 7EF8117C
	v_cvt_i32_f32_e32 v125, v125                               // 000000008EC0: 7EFA117D
	v_cvt_i32_f32_e32 v126, v126                               // 000000008EC4: 7EFC117E
	v_cvt_i32_f32_e32 v127, v127                               // 000000008EC8: 7EFE117F
	v_perm_b32 v112, v113, v112, s53                           // 000000008ECC: D1ED0070 00D6E171
	v_perm_b32 v112, v114, v112, s54                           // 000000008ED4: D1ED0070 00DAE172
	v_perm_b32 v112, v115, v112, s55                           // 000000008EDC: D1ED0070 00DEE173
	v_perm_b32 v113, v117, v116, s53                           // 000000008EE4: D1ED0071 00D6E975
	v_perm_b32 v113, v118, v113, s54                           // 000000008EEC: D1ED0071 00DAE376
	v_perm_b32 v113, v119, v113, s55                           // 000000008EF4: D1ED0071 00DEE377
	v_perm_b32 v114, v121, v120, s53                           // 000000008EFC: D1ED0072 00D6F179
	v_perm_b32 v114, v122, v114, s54                           // 000000008F04: D1ED0072 00DAE57A
	v_perm_b32 v114, v123, v114, s55                           // 000000008F0C: D1ED0072 00DEE57B
	v_perm_b32 v115, v125, v124, s53                           // 000000008F14: D1ED0073 00D6F97D
	v_perm_b32 v115, v126, v115, s54                           // 000000008F1C: D1ED0073 00DAE77E
	v_perm_b32 v115, v127, v115, s55                           // 000000008F24: D1ED0073 00DEE77F
	ds_write_b32 v10, v112 offset:25088                        // 000000008F2C: D81A6200 0000700A
	ds_write_b32 v10, v113 offset:26112                        // 000000008F34: D81A6600 0000710A
	ds_write_b32 v10, v114 offset:27136                        // 000000008F3C: D81A6A00 0000720A
	ds_write_b32 v10, v115 offset:28160                        // 000000008F44: D81A6E00 0000730A
	v_add_f32_e32 v208, v208, v176                             // 000000008F4C: 03A161D0
	v_add_f32_e32 v209, v209, v177                             // 000000008F50: 03A363D1
	v_add_f32_e32 v210, v210, v178                             // 000000008F54: 03A565D2
	v_add_f32_e32 v211, v211, v179                             // 000000008F58: 03A767D3
	v_add_f32_e32 v212, v212, v180                             // 000000008F5C: 03A969D4
	v_add_f32_e32 v213, v213, v181                             // 000000008F60: 03AB6BD5
	v_add_f32_e32 v214, v214, v182                             // 000000008F64: 03AD6DD6
	v_add_f32_e32 v215, v215, v183                             // 000000008F68: 03AF6FD7
	v_rcp_f32_e32 v44, v48                                     // 000000008F6C: 7E584530
	s_waitcnt lgkmcnt(0)                                       // 000000008F70: BF8CC07F
	s_barrier                                                  // 000000008F74: BF8A0000
	ds_read_b64 v[112:113], v9 offset:25088                    // 000000008F78: D8EC6200 70000009
	ds_read_b64 v[114:115], v9 offset:25216                    // 000000008F80: D8EC6280 72000009
	ds_read_b64 v[116:117], v9 offset:26112                    // 000000008F88: D8EC6600 74000009
	ds_read_b64 v[118:119], v9 offset:26240                    // 000000008F90: D8EC6680 76000009
	ds_read_b64 v[120:121], v9 offset:27136                    // 000000008F98: D8EC6A00 78000009
	ds_read_b64 v[122:123], v9 offset:27264                    // 000000008FA0: D8EC6A80 7A000009
	ds_read_b64 v[124:125], v9 offset:28160                    // 000000008FA8: D8EC6E00 7C000009
	ds_read_b64 v[126:127], v9 offset:28288                    // 000000008FB0: D8EC6E80 7E000009
	v_mov_b32_dpp v64, v43 row_shr:4 row_mask:0xf bank_mask:0xf// 000000008FB8: 7E8002FA FF01142B
	v_mov_b32_dpp v65, v43 row_shl:4 row_mask:0xf bank_mask:0xf// 000000008FC0: 7E8202FA FF01042B
	v_cndmask_b32_e64 v248, v43, v64, s[44:45]                 // 000000008FC8: D10000F8 00B2812B
	v_cndmask_b32_e64 v249, v65, v43, s[44:45]                 // 000000008FD0: D10000F9 00B25741
	v_mov_b32_dpp v64, v248 row_shr:8 row_mask:0xf bank_mask:0xf// 000000008FD8: 7E8002FA FF0118F8
	v_mov_b32_dpp v65, v248 row_shl:8 row_mask:0xf bank_mask:0xf// 000000008FE0: 7E8202FA FF0108F8
	v_mov_b32_dpp v66, v249 row_shr:8 row_mask:0xf bank_mask:0xf// 000000008FE8: 7E8402FA FF0118F9
	v_mov_b32_dpp v67, v249 row_shl:8 row_mask:0xf bank_mask:0xf// 000000008FF0: 7E8602FA FF0108F9
	v_mov_b32_e32 v68, v248                                    // 000000008FF8: 7E8803F8
	v_mov_b32_e32 v69, v249                                    // 000000008FFC: 7E8A03F9
	v_cndmask_b32_e64 v248, v68, v64, s[42:43]                 // 000000009000: D10000F8 00AA8144
	v_cndmask_b32_e64 v250, v68, v65, s[78:79]                 // 000000009008: D10000FA 013A8344
	v_cndmask_b32_e64 v249, v69, v66, s[42:43]                 // 000000009010: D10000F9 00AA8545
	v_cndmask_b32_e64 v251, v69, v67, s[78:79]                 // 000000009018: D10000FB 013A8745
	v_mov_b32_dpp v64, v58 row_shr:4 row_mask:0xf bank_mask:0xf// 000000009020: 7E8002FA FF01143A
	v_mov_b32_dpp v65, v58 row_shl:4 row_mask:0xf bank_mask:0xf// 000000009028: 7E8202FA FF01043A
	v_cndmask_b32_e64 v252, v58, v64, s[44:45]                 // 000000009030: D10000FC 00B2813A
	v_cndmask_b32_e64 v253, v65, v58, s[44:45]                 // 000000009038: D10000FD 00B27541
	v_mov_b32_dpp v64, v252 row_shr:8 row_mask:0xf bank_mask:0xf// 000000009040: 7E8002FA FF0118FC
	v_mov_b32_dpp v65, v252 row_shl:8 row_mask:0xf bank_mask:0xf// 000000009048: 7E8202FA FF0108FC
	v_mov_b32_dpp v66, v253 row_shr:8 row_mask:0xf bank_mask:0xf// 000000009050: 7E8402FA FF0118FD
	v_mov_b32_dpp v67, v253 row_shl:8 row_mask:0xf bank_mask:0xf// 000000009058: 7E8602FA FF0108FD
	v_mov_b32_e32 v68, v252                                    // 000000009060: 7E8803FC
	v_mov_b32_e32 v69, v253                                    // 000000009064: 7E8A03FD
	v_cndmask_b32_e64 v252, v68, v64, s[42:43]                 // 000000009068: D10000FC 00AA8144
	v_cndmask_b32_e64 v254, v68, v65, s[78:79]                 // 000000009070: D10000FE 013A8344
	v_cndmask_b32_e64 v253, v69, v66, s[42:43]                 // 000000009078: D10000FD 00AA8545
	v_cndmask_b32_e64 v255, v69, v67, s[78:79]                 // 000000009080: D10000FF 013A8745
	v_cvt_f32_i32_e32 v128, v128                               // 000000009088: 7F000B80
	v_cvt_f32_i32_e32 v129, v129                               // 00000000908C: 7F020B81
	v_cvt_f32_i32_e32 v130, v130                               // 000000009090: 7F040B82
	v_cvt_f32_i32_e32 v131, v131                               // 000000009094: 7F060B83
	v_cvt_f32_i32_e32 v132, v132                               // 000000009098: 7F080B84
	v_cvt_f32_i32_e32 v133, v133                               // 00000000909C: 7F0A0B85
	v_cvt_f32_i32_e32 v134, v134                               // 0000000090A0: 7F0C0B86
	v_cvt_f32_i32_e32 v135, v135                               // 0000000090A4: 7F0E0B87
	v_cvt_f32_i32_e32 v136, v136                               // 0000000090A8: 7F100B88
	v_cvt_f32_i32_e32 v137, v137                               // 0000000090AC: 7F120B89
	v_cvt_f32_i32_e32 v138, v138                               // 0000000090B0: 7F140B8A
	v_cvt_f32_i32_e32 v139, v139                               // 0000000090B4: 7F160B8B
	v_cvt_f32_i32_e32 v140, v140                               // 0000000090B8: 7F180B8C
	v_cvt_f32_i32_e32 v141, v141                               // 0000000090BC: 7F1A0B8D
	v_cvt_f32_i32_e32 v142, v142                               // 0000000090C0: 7F1C0B8E
	v_cvt_f32_i32_e32 v143, v143                               // 0000000090C4: 7F1E0B8F
	v_mul_f32_e32 v128, v19, v128                              // 0000000090C8: 0B010113
	v_mul_f32_e32 v129, v19, v129                              // 0000000090CC: 0B030313
	v_mul_f32_e32 v130, v19, v130                              // 0000000090D0: 0B050513
	v_mul_f32_e32 v131, v19, v131                              // 0000000090D4: 0B070713
	v_mul_f32_e32 v132, v19, v132                              // 0000000090D8: 0B090913
	v_mul_f32_e32 v133, v19, v133                              // 0000000090DC: 0B0B0B13
	v_mul_f32_e32 v134, v19, v134                              // 0000000090E0: 0B0D0D13
	v_mul_f32_e32 v135, v19, v135                              // 0000000090E4: 0B0F0F13
	v_mul_f32_e32 v136, v19, v136                              // 0000000090E8: 0B111113
	v_mul_f32_e32 v137, v19, v137                              // 0000000090EC: 0B131313
	v_mul_f32_e32 v138, v19, v138                              // 0000000090F0: 0B151513
	v_mul_f32_e32 v139, v19, v139                              // 0000000090F4: 0B171713
	v_mul_f32_e32 v140, v19, v140                              // 0000000090F8: 0B191913
	v_mul_f32_e32 v141, v19, v141                              // 0000000090FC: 0B1B1B13
	v_mul_f32_e32 v142, v19, v142                              // 000000009100: 0B1D1D13
	v_mul_f32_e32 v143, v19, v143                              // 000000009104: 0B1F1F13
	v_mul_f32_dpp v128, v248, v128 quad_perm:[0,0,0,0] row_mask:0xf bank_mask:0xf// 000000009108: 0B0100FA FF0000F8
	v_mul_f32_dpp v129, v248, v129 quad_perm:[1,1,1,1] row_mask:0xf bank_mask:0xf// 000000009110: 0B0302FA FF0055F8
	v_mul_f32_dpp v130, v248, v130 quad_perm:[2,2,2,2] row_mask:0xf bank_mask:0xf// 000000009118: 0B0504FA FF00AAF8
	v_mul_f32_dpp v131, v248, v131 quad_perm:[3,3,3,3] row_mask:0xf bank_mask:0xf// 000000009120: 0B0706FA FF00FFF8
	v_mul_f32_dpp v132, v249, v132 quad_perm:[0,0,0,0] row_mask:0xf bank_mask:0xf// 000000009128: 0B0908FA FF0000F9
	v_mul_f32_dpp v133, v249, v133 quad_perm:[1,1,1,1] row_mask:0xf bank_mask:0xf// 000000009130: 0B0B0AFA FF0055F9
	v_mul_f32_dpp v134, v249, v134 quad_perm:[2,2,2,2] row_mask:0xf bank_mask:0xf// 000000009138: 0B0D0CFA FF00AAF9
	v_mul_f32_dpp v135, v249, v135 quad_perm:[3,3,3,3] row_mask:0xf bank_mask:0xf// 000000009140: 0B0F0EFA FF00FFF9
	v_mul_f32_dpp v136, v250, v136 quad_perm:[0,0,0,0] row_mask:0xf bank_mask:0xf// 000000009148: 0B1110FA FF0000FA
	v_mul_f32_dpp v137, v250, v137 quad_perm:[1,1,1,1] row_mask:0xf bank_mask:0xf// 000000009150: 0B1312FA FF0055FA
	v_mul_f32_dpp v138, v250, v138 quad_perm:[2,2,2,2] row_mask:0xf bank_mask:0xf// 000000009158: 0B1514FA FF00AAFA
	v_mul_f32_dpp v139, v250, v139 quad_perm:[3,3,3,3] row_mask:0xf bank_mask:0xf// 000000009160: 0B1716FA FF00FFFA
	v_mul_f32_dpp v140, v251, v140 quad_perm:[0,0,0,0] row_mask:0xf bank_mask:0xf// 000000009168: 0B1918FA FF0000FB
	v_mul_f32_dpp v141, v251, v141 quad_perm:[1,1,1,1] row_mask:0xf bank_mask:0xf// 000000009170: 0B1B1AFA FF0055FB
	v_mul_f32_dpp v142, v251, v142 quad_perm:[2,2,2,2] row_mask:0xf bank_mask:0xf// 000000009178: 0B1D1CFA FF00AAFB
	v_mul_f32_dpp v143, v251, v143 quad_perm:[3,3,3,3] row_mask:0xf bank_mask:0xf// 000000009180: 0B1F1EFA FF00FFFB
	v_mov_b32_e32 v48, v128                                    // 000000009188: 7E600380
	v_max3_f32 v48, v128, v129, v48                            // 00000000918C: D1D30030 04C30380
	v_max3_f32 v48, v130, v131, v48                            // 000000009194: D1D30030 04C30782
	v_max3_f32 v48, v132, v133, v48                            // 00000000919C: D1D30030 04C30B84
	v_max3_f32 v48, v134, v135, v48                            // 0000000091A4: D1D30030 04C30F86
	v_max3_f32 v48, v136, v137, v48                            // 0000000091AC: D1D30030 04C31388
	v_max3_f32 v48, v138, v139, v48                            // 0000000091B4: D1D30030 04C3178A
	v_max3_f32 v48, v140, v141, v48                            // 0000000091BC: D1D30030 04C31B8C
	v_max3_f32 v48, v142, v143, v48                            // 0000000091C4: D1D30030 04C31F8E
	ds_write_b32 v8, v48 offset:16896                          // 0000000091CC: D81A4200 00003008
	v_mul_f32_e32 v216, v50, v216                              // 0000000091D4: 0BB1B132
	v_mul_f32_e32 v217, v50, v217                              // 0000000091D8: 0BB3B332
	v_mul_f32_e32 v218, v50, v218                              // 0000000091DC: 0BB5B532
	v_mul_f32_e32 v219, v50, v219                              // 0000000091E0: 0BB7B732
	v_mul_f32_e32 v220, v50, v220                              // 0000000091E4: 0BB9B932
	v_mul_f32_e32 v221, v50, v221                              // 0000000091E8: 0BBBBB32
	v_mul_f32_e32 v222, v50, v222                              // 0000000091EC: 0BBDBD32
	v_mul_f32_e32 v223, v50, v223                              // 0000000091F0: 0BBFBF32
	s_waitcnt lgkmcnt(0)                                       // 0000000091F4: BF8CC07F
	s_barrier                                                  // 0000000091F8: BF8A0000
	ds_read_b32 v64, v7 offset:16896                           // 0000000091FC: D86C4200 40000007
	ds_read_b32 v65, v7 offset:16960                           // 000000009204: D86C4240 41000007
	ds_read_b32 v66, v7 offset:17024                           // 00000000920C: D86C4280 42000007
	ds_read_b32 v67, v7 offset:17088                           // 000000009214: D86C42C0 43000007
	ds_read_b32 v68, v7 offset:17152                           // 00000000921C: D86C4300 44000007
	ds_read_b32 v69, v7 offset:17216                           // 000000009224: D86C4340 45000007
	ds_read_b32 v70, v7 offset:17280                           // 00000000922C: D86C4380 46000007
	ds_read_b32 v71, v7 offset:17344                           // 000000009234: D86C43C0 47000007
	ds_read_b32 v72, v7 offset:17408                           // 00000000923C: D86C4400 48000007
	ds_read_b32 v73, v7 offset:17472                           // 000000009244: D86C4440 49000007
	ds_read_b32 v74, v7 offset:17536                           // 00000000924C: D86C4480 4A000007
	ds_read_b32 v75, v7 offset:17600                           // 000000009254: D86C44C0 4B000007
	ds_read_b32 v76, v7 offset:17664                           // 00000000925C: D86C4500 4C000007
	ds_read_b32 v77, v7 offset:17728                           // 000000009264: D86C4540 4D000007
	ds_read_b32 v78, v7 offset:17792                           // 00000000926C: D86C4580 4E000007
	ds_read_b32 v79, v7 offset:17856                           // 000000009274: D86C45C0 4F000007
	v_cvt_f32_i32_e32 v184, v184                               // 00000000927C: 7F700BB8
	v_cvt_f32_i32_e32 v185, v185                               // 000000009280: 7F720BB9
	v_cvt_f32_i32_e32 v186, v186                               // 000000009284: 7F740BBA
	v_cvt_f32_i32_e32 v187, v187                               // 000000009288: 7F760BBB
	v_cvt_f32_i32_e32 v188, v188                               // 00000000928C: 7F780BBC
	v_cvt_f32_i32_e32 v189, v189                               // 000000009290: 7F7A0BBD
	v_cvt_f32_i32_e32 v190, v190                               // 000000009294: 7F7C0BBE
	v_cvt_f32_i32_e32 v191, v191                               // 000000009298: 7F7E0BBF
	v_mul_f32_e32 v184, v45, v184                              // 00000000929C: 0B71712D
	v_mul_f32_e32 v185, v45, v185                              // 0000000092A0: 0B73732D
	v_mul_f32_e32 v186, v45, v186                              // 0000000092A4: 0B75752D
	v_mul_f32_e32 v187, v45, v187                              // 0000000092A8: 0B77772D
	v_mul_f32_e32 v188, v45, v188                              // 0000000092AC: 0B79792D
	v_mul_f32_e32 v189, v45, v189                              // 0000000092B0: 0B7B7B2D
	v_mul_f32_e32 v190, v45, v190                              // 0000000092B4: 0B7D7D2D
	v_mul_f32_e32 v191, v45, v191                              // 0000000092B8: 0B7F7F2D
	s_waitcnt lgkmcnt(0)                                       // 0000000092BC: BF8CC07F
	v_max3_f32 v48, v64, v65, v48                              // 0000000092C0: D1D30030 04C28340
	v_max3_f32 v48, v66, v67, v48                              // 0000000092C8: D1D30030 04C28742
	v_max3_f32 v48, v68, v69, v48                              // 0000000092D0: D1D30030 04C28B44
	v_max3_f32 v48, v70, v71, v48                              // 0000000092D8: D1D30030 04C28F46
	v_max3_f32 v48, v72, v73, v48                              // 0000000092E0: D1D30030 04C29348
	v_max3_f32 v48, v74, v75, v48                              // 0000000092E8: D1D30030 04C2974A
	v_max3_f32 v48, v76, v77, v48                              // 0000000092F0: D1D30030 04C29B4C
	v_max3_f32 v48, v78, v79, v48                              // 0000000092F8: D1D30030 04C29F4E
	v_mov_b32_e32 v64, 0xff800000                              // 000000009300: 7E8002FF FF800000
	v_cmp_eq_u32_e64 s[40:41], v64, v12                        // 000000009308: D0CA0028 00021940
	s_nop 1                                                    // 000000009310: BF800001
	v_max_f32_e32 v15, v48, v12                                // 000000009314: 161E1930
	v_mul_f32_e32 v53, s64, v15                                // 000000009318: 0A6A1E40
	v_fma_f32 v128, v128, s64, -v53                            // 00000000931C: D1CB0080 84D48180
	v_fma_f32 v129, v129, s64, -v53                            // 000000009324: D1CB0081 84D48181
	v_fma_f32 v130, v130, s64, -v53                            // 00000000932C: D1CB0082 84D48182
	v_fma_f32 v131, v131, s64, -v53                            // 000000009334: D1CB0083 84D48183
	v_fma_f32 v132, v132, s64, -v53                            // 00000000933C: D1CB0084 84D48184
	v_fma_f32 v133, v133, s64, -v53                            // 000000009344: D1CB0085 84D48185
	v_fma_f32 v134, v134, s64, -v53                            // 00000000934C: D1CB0086 84D48186
	v_fma_f32 v135, v135, s64, -v53                            // 000000009354: D1CB0087 84D48187
	v_fma_f32 v136, v136, s64, -v53                            // 00000000935C: D1CB0088 84D48188
	v_fma_f32 v137, v137, s64, -v53                            // 000000009364: D1CB0089 84D48189
	v_fma_f32 v138, v138, s64, -v53                            // 00000000936C: D1CB008A 84D4818A
	v_fma_f32 v139, v139, s64, -v53                            // 000000009374: D1CB008B 84D4818B
	v_fma_f32 v140, v140, s64, -v53                            // 00000000937C: D1CB008C 84D4818C
	v_fma_f32 v141, v141, s64, -v53                            // 000000009384: D1CB008D 84D4818D
	v_fma_f32 v142, v142, s64, -v53                            // 00000000938C: D1CB008E 84D4818E
	v_fma_f32 v143, v143, s64, -v53                            // 000000009394: D1CB008F 84D4818F
	v_exp_f32_e32 v128, v128                                   // 00000000939C: 7F004180
	v_exp_f32_e32 v129, v129                                   // 0000000093A0: 7F024181
	v_exp_f32_e32 v130, v130                                   // 0000000093A4: 7F044182
	v_exp_f32_e32 v131, v131                                   // 0000000093A8: 7F064183
	v_exp_f32_e32 v132, v132                                   // 0000000093AC: 7F084184
	v_exp_f32_e32 v133, v133                                   // 0000000093B0: 7F0A4185
	v_exp_f32_e32 v134, v134                                   // 0000000093B4: 7F0C4186
	v_exp_f32_e32 v135, v135                                   // 0000000093B8: 7F0E4187
	v_exp_f32_e32 v136, v136                                   // 0000000093BC: 7F104188
	v_exp_f32_e32 v137, v137                                   // 0000000093C0: 7F124189
	v_exp_f32_e32 v138, v138                                   // 0000000093C4: 7F14418A
	v_exp_f32_e32 v139, v139                                   // 0000000093C8: 7F16418B
	v_exp_f32_e32 v140, v140                                   // 0000000093CC: 7F18418C
	v_exp_f32_e32 v141, v141                                   // 0000000093D0: 7F1A418D
	v_exp_f32_e32 v142, v142                                   // 0000000093D4: 7F1C418E
	v_exp_f32_e32 v143, v143                                   // 0000000093D8: 7F1E418F
	v_mul_f32_dpp v240, v252, v128 quad_perm:[0,0,0,0] row_mask:0xf bank_mask:0xf// 0000000093DC: 0BE100FA FF0000FC
	v_mul_f32_dpp v241, v252, v129 quad_perm:[1,1,1,1] row_mask:0xf bank_mask:0xf// 0000000093E4: 0BE302FA FF0055FC
	v_mul_f32_dpp v242, v252, v130 quad_perm:[2,2,2,2] row_mask:0xf bank_mask:0xf// 0000000093EC: 0BE504FA FF00AAFC
	v_mul_f32_dpp v243, v252, v131 quad_perm:[3,3,3,3] row_mask:0xf bank_mask:0xf// 0000000093F4: 0BE706FA FF00FFFC
	v_mul_f32_dpp v244, v253, v132 quad_perm:[0,0,0,0] row_mask:0xf bank_mask:0xf// 0000000093FC: 0BE908FA FF0000FD
	v_mul_f32_dpp v245, v253, v133 quad_perm:[1,1,1,1] row_mask:0xf bank_mask:0xf// 000000009404: 0BEB0AFA FF0055FD
	v_mul_f32_dpp v246, v253, v134 quad_perm:[2,2,2,2] row_mask:0xf bank_mask:0xf// 00000000940C: 0BED0CFA FF00AAFD
	v_mul_f32_dpp v247, v253, v135 quad_perm:[3,3,3,3] row_mask:0xf bank_mask:0xf// 000000009414: 0BEF0EFA FF00FFFD
	v_mul_f32_dpp v248, v254, v136 quad_perm:[0,0,0,0] row_mask:0xf bank_mask:0xf// 00000000941C: 0BF110FA FF0000FE
	v_mul_f32_dpp v249, v254, v137 quad_perm:[1,1,1,1] row_mask:0xf bank_mask:0xf// 000000009424: 0BF312FA FF0055FE
	v_mul_f32_dpp v250, v254, v138 quad_perm:[2,2,2,2] row_mask:0xf bank_mask:0xf// 00000000942C: 0BF514FA FF00AAFE
	v_mul_f32_dpp v251, v254, v139 quad_perm:[3,3,3,3] row_mask:0xf bank_mask:0xf// 000000009434: 0BF716FA FF00FFFE
	v_mul_f32_dpp v252, v255, v140 quad_perm:[0,0,0,0] row_mask:0xf bank_mask:0xf// 00000000943C: 0BF918FA FF0000FF
	v_mul_f32_dpp v253, v255, v141 quad_perm:[1,1,1,1] row_mask:0xf bank_mask:0xf// 000000009444: 0BFB1AFA FF0055FF
	v_mul_f32_dpp v254, v255, v142 quad_perm:[2,2,2,2] row_mask:0xf bank_mask:0xf// 00000000944C: 0BFD1CFA FF00AAFF
	v_mul_f32_dpp v255, v255, v143 quad_perm:[3,3,3,3] row_mask:0xf bank_mask:0xf// 000000009454: 0BFF1EFA FF00FFFF
	v_mov_b32_e32 v48, 0x358637bd                              // 00000000945C: 7E6002FF 358637BD
	v_max3_f32 v48, |v240|, |v241|, v48                        // 000000009464: D1D30330 04C3E3F0
	v_max3_f32 v48, |v242|, |v243|, v48                        // 00000000946C: D1D30330 04C3E7F2
	v_max3_f32 v48, |v244|, |v245|, v48                        // 000000009474: D1D30330 04C3EBF4
	v_max3_f32 v48, |v246|, |v247|, v48                        // 00000000947C: D1D30330 04C3EFF6
	v_max3_f32 v48, |v248|, |v249|, v48                        // 000000009484: D1D30330 04C3F3F8
	v_max3_f32 v48, |v250|, |v251|, v48                        // 00000000948C: D1D30330 04C3F7FA
	v_max3_f32 v48, |v252|, |v253|, v48                        // 000000009494: D1D30330 04C3FBFC
	v_max3_f32 v48, |v254|, |v255|, v48                        // 00000000949C: D1D30330 04C3FFFE
	ds_write_b32 v8, v48 offset:20992                          // 0000000094A4: D81A5200 00003008
	v_sub_f32_e32 v50, v12, v15                                // 0000000094AC: 04641F0C
	v_cndmask_b32_e64 v50, v50, 0, s[40:41]                    // 0000000094B0: D1000032 00A10132
	v_mov_b32_e32 v12, v15                                     // 0000000094B8: 7E18030F
	v_mul_f32_e32 v50, s64, v50                                // 0000000094BC: 0A646440
	v_exp_f32_e32 v50, v50                                     // 0000000094C0: 7E644132
	s_waitcnt lgkmcnt(0)                                       // 0000000094C4: BF8CC07F
	s_barrier                                                  // 0000000094C8: BF8A0000
	ds_read_b32 v64, v7 offset:20992                           // 0000000094CC: D86C5200 40000007
	ds_read_b32 v65, v7 offset:21056                           // 0000000094D4: D86C5240 41000007
	ds_read_b32 v66, v7 offset:21120                           // 0000000094DC: D86C5280 42000007
	ds_read_b32 v67, v7 offset:21184                           // 0000000094E4: D86C52C0 43000007
	ds_read_b32 v68, v7 offset:21248                           // 0000000094EC: D86C5300 44000007
	ds_read_b32 v69, v7 offset:21312                           // 0000000094F4: D86C5340 45000007
	ds_read_b32 v70, v7 offset:21376                           // 0000000094FC: D86C5380 46000007
	ds_read_b32 v71, v7 offset:21440                           // 000000009504: D86C53C0 47000007
	ds_read_b32 v72, v7 offset:21504                           // 00000000950C: D86C5400 48000007
	ds_read_b32 v73, v7 offset:21568                           // 000000009514: D86C5440 49000007
	ds_read_b32 v74, v7 offset:21632                           // 00000000951C: D86C5480 4A000007
	ds_read_b32 v75, v7 offset:21696                           // 000000009524: D86C54C0 4B000007
	ds_read_b32 v76, v7 offset:21760                           // 00000000952C: D86C5500 4C000007
	ds_read_b32 v77, v7 offset:21824                           // 000000009534: D86C5540 4D000007
	ds_read_b32 v78, v7 offset:21888                           // 00000000953C: D86C5580 4E000007
	ds_read_b32 v79, v7 offset:21952                           // 000000009544: D86C55C0 4F000007
	v_mul_f32_e32 v39, v50, v39                                // 00000000954C: 0A4E4F32
	v_mov_b32_e32 v15, v128                                    // 000000009550: 7E1E0380
	v_add_f32_e32 v15, v129, v15                               // 000000009554: 021E1F81
	v_add_f32_e32 v15, v130, v15                               // 000000009558: 021E1F82
	v_add_f32_e32 v15, v131, v15                               // 00000000955C: 021E1F83
	v_add_f32_e32 v15, v132, v15                               // 000000009560: 021E1F84
	v_add_f32_e32 v15, v133, v15                               // 000000009564: 021E1F85
	v_add_f32_e32 v15, v134, v15                               // 000000009568: 021E1F86
	v_add_f32_e32 v15, v135, v15                               // 00000000956C: 021E1F87
	v_add_f32_e32 v15, v136, v15                               // 000000009570: 021E1F88
	v_add_f32_e32 v15, v137, v15                               // 000000009574: 021E1F89
	v_add_f32_e32 v15, v138, v15                               // 000000009578: 021E1F8A
	v_add_f32_e32 v15, v139, v15                               // 00000000957C: 021E1F8B
	v_add_f32_e32 v15, v140, v15                               // 000000009580: 021E1F8C
	v_add_f32_e32 v15, v141, v15                               // 000000009584: 021E1F8D
	v_add_f32_e32 v15, v142, v15                               // 000000009588: 021E1F8E
	v_add_f32_e32 v15, v143, v15                               // 00000000958C: 021E1F8F
	v_add_f32_e32 v39, v15, v39                                // 000000009590: 024E4F0F
	s_waitcnt lgkmcnt(0)                                       // 000000009594: BF8CC07F
	v_max3_f32 v48, |v64|, |v65|, v48                          // 000000009598: D1D30330 04C28340
	v_max3_f32 v48, |v66|, |v67|, v48                          // 0000000095A0: D1D30330 04C28742
	v_max3_f32 v48, |v68|, |v69|, v48                          // 0000000095A8: D1D30330 04C28B44
	v_max3_f32 v48, |v70|, |v71|, v48                          // 0000000095B0: D1D30330 04C28F46
	v_max3_f32 v48, |v72|, |v73|, v48                          // 0000000095B8: D1D30330 04C29348
	v_max3_f32 v48, |v74|, |v75|, v48                          // 0000000095C0: D1D30330 04C2974A
	v_max3_f32 v48, |v76|, |v77|, v48                          // 0000000095C8: D1D30330 04C29B4C
	v_max3_f32 v48, |v78|, |v79|, v48                          // 0000000095D0: D1D30330 04C29F4E
	s_nop 2                                                    // 0000000095D8: BF800002
	v_rcp_f32_e32 v48, v48                                     // 0000000095DC: 7E604530
	s_nop 1                                                    // 0000000095E0: BF800001
	v_mul_f32_e32 v48, 0x42fe0000, v48                         // 0000000095E4: 0A6060FF 42FE0000
	v_mul_f32_e32 v128, v48, v240                              // 0000000095EC: 0B01E130
	v_mul_f32_e32 v129, v48, v241                              // 0000000095F0: 0B03E330
	v_mul_f32_e32 v130, v48, v242                              // 0000000095F4: 0B05E530
	v_mul_f32_e32 v131, v48, v243                              // 0000000095F8: 0B07E730
	v_mul_f32_e32 v132, v48, v244                              // 0000000095FC: 0B09E930
	v_mul_f32_e32 v133, v48, v245                              // 000000009600: 0B0BEB30
	v_mul_f32_e32 v134, v48, v246                              // 000000009604: 0B0DED30
	v_mul_f32_e32 v135, v48, v247                              // 000000009608: 0B0FEF30
	v_mul_f32_e32 v136, v48, v248                              // 00000000960C: 0B11F130
	v_mul_f32_e32 v137, v48, v249                              // 000000009610: 0B13F330
	v_mul_f32_e32 v138, v48, v250                              // 000000009614: 0B15F530
	v_mul_f32_e32 v139, v48, v251                              // 000000009618: 0B17F730
	v_mul_f32_e32 v140, v48, v252                              // 00000000961C: 0B19F930
	v_mul_f32_e32 v141, v48, v253                              // 000000009620: 0B1BFB30
	v_mul_f32_e32 v142, v48, v254                              // 000000009624: 0B1DFD30
	v_mul_f32_e32 v143, v48, v255                              // 000000009628: 0B1FFF30
	v_cvt_i32_f32_e32 v128, v128                               // 00000000962C: 7F001180
	v_cvt_i32_f32_e32 v129, v129                               // 000000009630: 7F021181
	v_cvt_i32_f32_e32 v130, v130                               // 000000009634: 7F041182
	v_cvt_i32_f32_e32 v131, v131                               // 000000009638: 7F061183
	v_cvt_i32_f32_e32 v132, v132                               // 00000000963C: 7F081184
	v_cvt_i32_f32_e32 v133, v133                               // 000000009640: 7F0A1185
	v_cvt_i32_f32_e32 v134, v134                               // 000000009644: 7F0C1186
	v_cvt_i32_f32_e32 v135, v135                               // 000000009648: 7F0E1187
	v_cvt_i32_f32_e32 v136, v136                               // 00000000964C: 7F101188
	v_cvt_i32_f32_e32 v137, v137                               // 000000009650: 7F121189
	v_cvt_i32_f32_e32 v138, v138                               // 000000009654: 7F14118A
	v_cvt_i32_f32_e32 v139, v139                               // 000000009658: 7F16118B
	v_cvt_i32_f32_e32 v140, v140                               // 00000000965C: 7F18118C
	v_cvt_i32_f32_e32 v141, v141                               // 000000009660: 7F1A118D
	v_cvt_i32_f32_e32 v142, v142                               // 000000009664: 7F1C118E
	v_cvt_i32_f32_e32 v143, v143                               // 000000009668: 7F1E118F
	v_perm_b32 v128, v129, v128, s53                           // 00000000966C: D1ED0080 00D70181
	v_perm_b32 v128, v130, v128, s54                           // 000000009674: D1ED0080 00DB0182
	v_perm_b32 v128, v131, v128, s55                           // 00000000967C: D1ED0080 00DF0183
	v_perm_b32 v129, v133, v132, s53                           // 000000009684: D1ED0081 00D70985
	v_perm_b32 v129, v134, v129, s54                           // 00000000968C: D1ED0081 00DB0386
	v_perm_b32 v129, v135, v129, s55                           // 000000009694: D1ED0081 00DF0387
	v_perm_b32 v130, v137, v136, s53                           // 00000000969C: D1ED0082 00D71189
	v_perm_b32 v130, v138, v130, s54                           // 0000000096A4: D1ED0082 00DB058A
	v_perm_b32 v130, v139, v130, s55                           // 0000000096AC: D1ED0082 00DF058B
	v_perm_b32 v131, v141, v140, s53                           // 0000000096B4: D1ED0083 00D7198D
	v_perm_b32 v131, v142, v131, s54                           // 0000000096BC: D1ED0083 00DB078E
	v_perm_b32 v131, v143, v131, s55                           // 0000000096C4: D1ED0083 00DF078F
	ds_write_b32 v10, v128 offset:29184                        // 0000000096CC: D81A7200 0000800A
	ds_write_b32 v10, v129 offset:30208                        // 0000000096D4: D81A7600 0000810A
	ds_write_b32 v10, v130 offset:31232                        // 0000000096DC: D81A7A00 0000820A
	ds_write_b32 v10, v131 offset:32256                        // 0000000096E4: D81A7E00 0000830A
	v_add_f32_e32 v216, v216, v184                             // 0000000096EC: 03B171D8
	v_add_f32_e32 v217, v217, v185                             // 0000000096F0: 03B373D9
	v_add_f32_e32 v218, v218, v186                             // 0000000096F4: 03B575DA
	v_add_f32_e32 v219, v219, v187                             // 0000000096F8: 03B777DB
	v_add_f32_e32 v220, v220, v188                             // 0000000096FC: 03B979DC
	v_add_f32_e32 v221, v221, v189                             // 000000009700: 03BB7BDD
	v_add_f32_e32 v222, v222, v190                             // 000000009704: 03BD7DDE
	v_add_f32_e32 v223, v223, v191                             // 000000009708: 03BF7FDF
	v_rcp_f32_e32 v45, v48                                     // 00000000970C: 7E5A4530
	s_waitcnt lgkmcnt(0)                                       // 000000009710: BF8CC07F
	s_barrier                                                  // 000000009714: BF8A0000
	ds_read_b64 v[128:129], v9 offset:29184                    // 000000009718: D8EC7200 80000009
	ds_read_b64 v[130:131], v9 offset:29312                    // 000000009720: D8EC7280 82000009
	ds_read_b64 v[132:133], v9 offset:30208                    // 000000009728: D8EC7600 84000009
	ds_read_b64 v[134:135], v9 offset:30336                    // 000000009730: D8EC7680 86000009
	ds_read_b64 v[136:137], v9 offset:31232                    // 000000009738: D8EC7A00 88000009
	ds_read_b64 v[138:139], v9 offset:31360                    // 000000009740: D8EC7A80 8A000009
	ds_read_b64 v[140:141], v9 offset:32256                    // 000000009748: D8EC7E00 8C000009
	ds_read_b64 v[142:143], v9 offset:32384                    // 000000009750: D8EC7E80 8E000009
	s_waitcnt vmcnt(15)                                        // 000000009758: BF8C0F7F
	v_mfma_i32_16x16x32_i8 v[176:179], a[96:97], v[112:113], 0 // 00000000975C: D3D700B0 0A02E160
	v_mfma_i32_16x16x32_i8 v[176:179], a[98:99], v[114:115], v[176:179]// 000000009764: D3D700B0 0EC2E562
	buffer_load_dwordx4 a[80:83], v30, s[20:23], 0 offen offset:1024// 00000000976C: E05C1400 8085501E
	v_mfma_i32_16x16x32_i8 v[176:179], a[100:101], v[116:117], v[176:179]// 000000009774: D3D700B0 0EC2E964
	v_mfma_i32_16x16x32_i8 v[176:179], a[102:103], v[118:119], v[176:179]// 00000000977C: D3D700B0 0EC2ED66
	v_mfma_i32_16x16x32_i8 v[176:179], a[104:105], v[120:121], v[176:179]// 000000009784: D3D700B0 0EC2F168
	v_mfma_i32_16x16x32_i8 v[176:179], a[106:107], v[122:123], v[176:179]// 00000000978C: D3D700B0 0EC2F56A
	buffer_load_dwordx4 a[84:87], v31, s[20:23], 0 offen offset:1024// 000000009794: E05C1400 8085541F
	v_mfma_i32_16x16x32_i8 v[176:179], a[108:109], v[124:125], v[176:179]// 00000000979C: D3D700B0 0EC2F96C
	v_mfma_i32_16x16x32_i8 v[176:179], a[110:111], v[126:127], v[176:179]// 0000000097A4: D3D700B0 0EC2FD6E
	v_mfma_i32_16x16x32_i8 v[180:183], a[112:113], v[112:113], 0// 0000000097AC: D3D700B4 0A02E170
	v_mfma_i32_16x16x32_i8 v[180:183], a[114:115], v[114:115], v[180:183]// 0000000097B4: D3D700B4 0ED2E572
	buffer_load_dwordx4 a[88:91], v32, s[20:23], 0 offen offset:1024// 0000000097BC: E05C1400 80855820
	v_mfma_i32_16x16x32_i8 v[180:183], a[116:117], v[116:117], v[180:183]// 0000000097C4: D3D700B4 0ED2E974
	v_mfma_i32_16x16x32_i8 v[180:183], a[118:119], v[118:119], v[180:183]// 0000000097CC: D3D700B4 0ED2ED76
	v_mfma_i32_16x16x32_i8 v[180:183], a[120:121], v[120:121], v[180:183]// 0000000097D4: D3D700B4 0ED2F178
	v_mfma_i32_16x16x32_i8 v[180:183], a[122:123], v[122:123], v[180:183]// 0000000097DC: D3D700B4 0ED2F57A
	buffer_load_dwordx4 a[92:95], v33, s[20:23], 0 offen offset:1024// 0000000097E4: E05C1400 80855C21
	v_mfma_i32_16x16x32_i8 v[180:183], a[124:125], v[124:125], v[180:183]// 0000000097EC: D3D700B4 0ED2F97C
	s_lshr_b32 s57, s70, 4                                     // 0000000097F4: 8F398446
	s_add_u32 s57, 48, s57                                     // 0000000097F8: 803939B0
	v_mfma_i32_16x16x32_i8 v[180:183], a[126:127], v[126:127], v[180:183]// 0000000097FC: D3D700B4 0ED2FD7E
	s_cmp_ge_u32 s57, s73                                      // 000000009804: BF094939
	s_cselect_b32 s56, 0, s56                                  // 000000009808: 85383880
	v_mfma_i32_16x16x32_i8 v[184:187], a[96:97], v[128:129], 0 // 00000000980C: D3D700B8 0A030160
	v_mfma_i32_16x16x32_i8 v[184:187], a[98:99], v[130:131], v[184:187]// 000000009814: D3D700B8 0EE30562
	v_mfma_i32_16x16x32_i8 v[184:187], a[100:101], v[132:133], v[184:187]// 00000000981C: D3D700B8 0EE30964
	v_mfma_i32_16x16x32_i8 v[184:187], a[102:103], v[134:135], v[184:187]// 000000009824: D3D700B8 0EE30D66
	v_mfma_i32_16x16x32_i8 v[184:187], a[104:105], v[136:137], v[184:187]// 00000000982C: D3D700B8 0EE31168
	v_mfma_i32_16x16x32_i8 v[184:187], a[106:107], v[138:139], v[184:187]// 000000009834: D3D700B8 0EE3156A
	v_mfma_i32_16x16x32_i8 v[184:187], a[108:109], v[140:141], v[184:187]// 00000000983C: D3D700B8 0EE3196C
	v_mfma_i32_16x16x32_i8 v[184:187], a[110:111], v[142:143], v[184:187]// 000000009844: D3D700B8 0EE31D6E
	v_mfma_i32_16x16x32_i8 v[188:191], a[112:113], v[128:129], 0// 00000000984C: D3D700BC 0A030170
	v_mfma_i32_16x16x32_i8 v[188:191], a[114:115], v[130:131], v[188:191]// 000000009854: D3D700BC 0EF30572
	v_mfma_i32_16x16x32_i8 v[188:191], a[116:117], v[132:133], v[188:191]// 00000000985C: D3D700BC 0EF30974
	v_mfma_i32_16x16x32_i8 v[188:191], a[118:119], v[134:135], v[188:191]// 000000009864: D3D700BC 0EF30D76
	v_mfma_i32_16x16x32_i8 v[188:191], a[120:121], v[136:137], v[188:191]// 00000000986C: D3D700BC 0EF31178
	v_mfma_i32_16x16x32_i8 v[188:191], a[122:123], v[138:139], v[188:191]// 000000009874: D3D700BC 0EF3157A
	v_mfma_i32_16x16x32_i8 v[188:191], a[124:125], v[140:141], v[188:191]// 00000000987C: D3D700BC 0EF3197C
	v_mfma_i32_16x16x32_i8 v[188:191], a[126:127], v[142:143], v[188:191]// 000000009884: D3D700BC 0EF31D7E
	v_add_u32_e32 v1, s56, v1                                  // 00000000988C: 68020238
	s_addk_i32 s70, 0x100                                      // 000000009890: B7460100
	s_cmp_lt_i32 s70, s71                                      // 000000009894: BF044746
	s_cbranch_scc0 label_1DA8                                  // 000000009898: BF840001
	s_branch label_146B                                        // 00000000989C: BF82F6C3

00000000000098a0 <label_1DA8>:
	s_nop 0                                                    // 0000000098A0: BF800000
	s_nop 0                                                    // 0000000098A4: BF800000
	s_branch label_26E8                                        // 0000000098A8: BF82093D

00000000000098ac <label_1DAB>:
	s_waitcnt vmcnt(8) lgkmcnt(0)                              // 0000000098AC: BF8C0078
	v_mul_u32_u24_dpp v64, v17, v54 row_newbcast:0 row_mask:0xf bank_mask:0xf// 0000000098B0: 10806CFA FF015011
	v_mul_u32_u24_dpp v65, v17, v54 row_newbcast:4 row_mask:0xf bank_mask:0xf// 0000000098B8: 10826CFA FF015411
	v_mul_u32_u24_dpp v66, v17, v54 row_newbcast:8 row_mask:0xf bank_mask:0xf// 0000000098C0: 10846CFA FF015811
	v_mul_u32_u24_dpp v67, v17, v54 row_newbcast:12 row_mask:0xf bank_mask:0xf// 0000000098C8: 10866CFA FF015C11
	v_add_u32_e32 v26, v64, v5                                 // 0000000098D0: 68340B40
	v_add_u32_e32 v27, v65, v5                                 // 0000000098D4: 68360B41
	v_add_u32_e32 v28, v66, v5                                 // 0000000098D8: 68380B42
	v_add_u32_e32 v29, v67, v5                                 // 0000000098DC: 683A0B43
	v_mul_u32_u24_dpp v64, v17, v63 quad_perm:[0,0,0,0] row_mask:0xf bank_mask:0xf// 0000000098E0: 10807EFA FF000011
	v_add_u32_e32 v3, v64, v59                                 // 0000000098E8: 68067740
	v_mul_u32_u24_dpp v64, v17, v63 quad_perm:[0,0,0,0] row_mask:0xf bank_mask:0xf// 0000000098EC: 10807EFA FF000011
	v_add_u32_e32 v56, v64, v60                                // 0000000098F4: 68707940
	v_mfma_i32_16x16x32_i8 v[112:115], a[0:1], v[80:81], 0     // 0000000098F8: D3D70070 0A02A100
	buffer_load_dwordx4 a[32:35], v26, s[16:19], 0 offen       // 000000009900: E05C1000 8084201A
	v_mfma_i32_16x16x32_i8 v[112:115], a[2:3], v[82:83], v[112:115]// 000000009908: D3D70070 0DC2A502
	v_mfma_i32_16x16x32_i8 v[112:115], a[4:5], v[84:85], v[112:115]// 000000009910: D3D70070 0DC2A904
	buffer_load_dword v16, v1, s[24:27], 0 offen               // 000000009918: E0501000 80061001
	v_mfma_i32_16x16x32_i8 v[112:115], a[6:7], v[86:87], v[112:115]// 000000009920: D3D70070 0DC2AD06
	v_mfma_i32_16x16x32_i8 v[116:119], a[8:9], v[80:81], 0     // 000000009928: D3D70074 0A02A108
	buffer_load_dwordx4 a[36:39], v26, s[16:19], 0 offen offset:1024// 000000009930: E05C1400 8084241A
	v_mfma_i32_16x16x32_i8 v[116:119], a[10:11], v[82:83], v[116:119]// 000000009938: D3D70074 0DD2A50A
	v_mfma_i32_16x16x32_i8 v[116:119], a[12:13], v[84:85], v[116:119]// 000000009940: D3D70074 0DD2A90C
	v_mfma_i32_16x16x32_i8 v[116:119], a[14:15], v[86:87], v[116:119]// 000000009948: D3D70074 0DD2AD0E
	v_mfma_i32_16x16x32_i8 v[120:123], a[16:17], v[80:81], 0   // 000000009950: D3D70078 0A02A110
	buffer_load_dwordx4 a[40:43], v27, s[16:19], 0 offen       // 000000009958: E05C1000 8084281B
	v_mfma_i32_16x16x32_i8 v[120:123], a[18:19], v[82:83], v[120:123]// 000000009960: D3D70078 0DE2A512
	v_mfma_i32_16x16x32_i8 v[120:123], a[20:21], v[84:85], v[120:123]// 000000009968: D3D70078 0DE2A914
	v_mfma_i32_16x16x32_i8 v[120:123], a[22:23], v[86:87], v[120:123]// 000000009970: D3D70078 0DE2AD16
	v_mfma_i32_16x16x32_i8 v[124:127], a[24:25], v[80:81], 0   // 000000009978: D3D7007C 0A02A118
	buffer_load_dwordx4 a[44:47], v27, s[16:19], 0 offen offset:1024// 000000009980: E05C1400 80842C1B
	v_mfma_i32_16x16x32_i8 v[124:127], a[26:27], v[82:83], v[124:127]// 000000009988: D3D7007C 0DF2A51A
	v_mfma_i32_16x16x32_i8 v[124:127], a[28:29], v[84:85], v[124:127]// 000000009990: D3D7007C 0DF2A91C
	v_mfma_i32_16x16x32_i8 v[124:127], a[30:31], v[86:87], v[124:127]// 000000009998: D3D7007C 0DF2AD1E
	v_mfma_i32_16x16x32_i8 v[128:131], a[0:1], v[88:89], 0     // 0000000099A0: D3D70080 0A02B100
	v_mfma_i32_16x16x32_i8 v[128:131], a[2:3], v[90:91], v[128:131]// 0000000099A8: D3D70080 0E02B502
	v_mfma_i32_16x16x32_i8 v[128:131], a[4:5], v[92:93], v[128:131]// 0000000099B0: D3D70080 0E02B904
	v_mfma_i32_16x16x32_i8 v[128:131], a[6:7], v[94:95], v[128:131]// 0000000099B8: D3D70080 0E02BD06
	v_mfma_i32_16x16x32_i8 v[132:135], a[8:9], v[88:89], 0     // 0000000099C0: D3D70084 0A02B108
	v_mfma_i32_16x16x32_i8 v[132:135], a[10:11], v[90:91], v[132:135]// 0000000099C8: D3D70084 0E12B50A
	v_mfma_i32_16x16x32_i8 v[132:135], a[12:13], v[92:93], v[132:135]// 0000000099D0: D3D70084 0E12B90C
	v_mfma_i32_16x16x32_i8 v[132:135], a[14:15], v[94:95], v[132:135]// 0000000099D8: D3D70084 0E12BD0E
	v_mfma_i32_16x16x32_i8 v[136:139], a[16:17], v[88:89], 0   // 0000000099E0: D3D70088 0A02B110
	v_mfma_i32_16x16x32_i8 v[136:139], a[18:19], v[90:91], v[136:139]// 0000000099E8: D3D70088 0E22B512
	v_mfma_i32_16x16x32_i8 v[136:139], a[20:21], v[92:93], v[136:139]// 0000000099F0: D3D70088 0E22B914
	v_mfma_i32_16x16x32_i8 v[136:139], a[22:23], v[94:95], v[136:139]// 0000000099F8: D3D70088 0E22BD16
	v_mfma_i32_16x16x32_i8 v[140:143], a[24:25], v[88:89], 0   // 000000009A00: D3D7008C 0A02B118
	v_mfma_i32_16x16x32_i8 v[140:143], a[26:27], v[90:91], v[140:143]// 000000009A08: D3D7008C 0E32B51A
	v_mfma_i32_16x16x32_i8 v[140:143], a[28:29], v[92:93], v[140:143]// 000000009A10: D3D7008C 0E32B91C
	v_mfma_i32_16x16x32_i8 v[140:143], a[30:31], v[94:95], v[140:143]// 000000009A18: D3D7008C 0E32BD1E
	buffer_load_dword v43, v3, s[32:35], 0 offen               // 000000009A20: E0501000 80082B03
	v_mov_b32_dpp v64, v42 row_shr:4 row_mask:0xf bank_mask:0xf// 000000009A28: 7E8002FA FF01142A
	v_mov_b32_dpp v65, v42 row_shl:4 row_mask:0xf bank_mask:0xf// 000000009A30: 7E8202FA FF01042A
	v_cndmask_b32_e64 v248, v42, v64, s[44:45]                 // 000000009A38: D10000F8 00B2812A
	v_cndmask_b32_e64 v249, v65, v42, s[44:45]                 // 000000009A40: D10000F9 00B25541
	v_mov_b32_dpp v64, v248 row_shr:8 row_mask:0xf bank_mask:0xf// 000000009A48: 7E8002FA FF0118F8
	v_mov_b32_dpp v65, v248 row_shl:8 row_mask:0xf bank_mask:0xf// 000000009A50: 7E8202FA FF0108F8
	v_mov_b32_dpp v66, v249 row_shr:8 row_mask:0xf bank_mask:0xf// 000000009A58: 7E8402FA FF0118F9
	v_mov_b32_dpp v67, v249 row_shl:8 row_mask:0xf bank_mask:0xf// 000000009A60: 7E8602FA FF0108F9
	v_mov_b32_e32 v68, v248                                    // 000000009A68: 7E8803F8
	v_mov_b32_e32 v69, v249                                    // 000000009A6C: 7E8A03F9
	v_cndmask_b32_e64 v248, v68, v64, s[42:43]                 // 000000009A70: D10000F8 00AA8144
	v_cndmask_b32_e64 v250, v68, v65, s[78:79]                 // 000000009A78: D10000FA 013A8344
	v_cndmask_b32_e64 v249, v69, v66, s[42:43]                 // 000000009A80: D10000F9 00AA8545
	v_cndmask_b32_e64 v251, v69, v67, s[78:79]                 // 000000009A88: D10000FB 013A8745
	v_mov_b32_dpp v64, v57 row_shr:4 row_mask:0xf bank_mask:0xf// 000000009A90: 7E8002FA FF011439
	v_mov_b32_dpp v65, v57 row_shl:4 row_mask:0xf bank_mask:0xf// 000000009A98: 7E8202FA FF010439
	v_cndmask_b32_e64 v252, v57, v64, s[44:45]                 // 000000009AA0: D10000FC 00B28139
	v_cndmask_b32_e64 v253, v65, v57, s[44:45]                 // 000000009AA8: D10000FD 00B27341
	v_mov_b32_dpp v64, v252 row_shr:8 row_mask:0xf bank_mask:0xf// 000000009AB0: 7E8002FA FF0118FC
	v_mov_b32_dpp v65, v252 row_shl:8 row_mask:0xf bank_mask:0xf// 000000009AB8: 7E8202FA FF0108FC
	v_mov_b32_dpp v66, v253 row_shr:8 row_mask:0xf bank_mask:0xf// 000000009AC0: 7E8402FA FF0118FD
	v_mov_b32_dpp v67, v253 row_shl:8 row_mask:0xf bank_mask:0xf// 000000009AC8: 7E8602FA FF0108FD
	v_mov_b32_e32 v68, v252                                    // 000000009AD0: 7E8803FC
	v_mov_b32_e32 v69, v253                                    // 000000009AD4: 7E8A03FD
	v_cndmask_b32_e64 v252, v68, v64, s[42:43]                 // 000000009AD8: D10000FC 00AA8144
	v_cndmask_b32_e64 v254, v68, v65, s[78:79]                 // 000000009AE0: D10000FE 013A8344
	v_cndmask_b32_e64 v253, v69, v66, s[42:43]                 // 000000009AE8: D10000FD 00AA8545
	v_cndmask_b32_e64 v255, v69, v67, s[78:79]                 // 000000009AF0: D10000FF 013A8745
	buffer_load_dword v58, v56, s[36:39], 0 offen              // 000000009AF8: E0501000 80093A38
	v_cvt_f32_i32_e32 v112, v112                               // 000000009B00: 7EE00B70
	v_cvt_f32_i32_e32 v113, v113                               // 000000009B04: 7EE20B71
	v_cvt_f32_i32_e32 v114, v114                               // 000000009B08: 7EE40B72
	v_cvt_f32_i32_e32 v115, v115                               // 000000009B0C: 7EE60B73
	v_cvt_f32_i32_e32 v116, v116                               // 000000009B10: 7EE80B74
	v_cvt_f32_i32_e32 v117, v117                               // 000000009B14: 7EEA0B75
	v_cvt_f32_i32_e32 v118, v118                               // 000000009B18: 7EEC0B76
	v_cvt_f32_i32_e32 v119, v119                               // 000000009B1C: 7EEE0B77
	v_cvt_f32_i32_e32 v120, v120                               // 000000009B20: 7EF00B78
	v_cvt_f32_i32_e32 v121, v121                               // 000000009B24: 7EF20B79
	v_cvt_f32_i32_e32 v122, v122                               // 000000009B28: 7EF40B7A
	v_cvt_f32_i32_e32 v123, v123                               // 000000009B2C: 7EF60B7B
	v_cvt_f32_i32_e32 v124, v124                               // 000000009B30: 7EF80B7C
	v_cvt_f32_i32_e32 v125, v125                               // 000000009B34: 7EFA0B7D
	v_cvt_f32_i32_e32 v126, v126                               // 000000009B38: 7EFC0B7E
	v_cvt_f32_i32_e32 v127, v127                               // 000000009B3C: 7EFE0B7F
	v_mul_f32_e32 v112, v18, v112                              // 000000009B40: 0AE0E112
	v_mul_f32_e32 v113, v18, v113                              // 000000009B44: 0AE2E312
	v_mul_f32_e32 v114, v18, v114                              // 000000009B48: 0AE4E512
	v_mul_f32_e32 v115, v18, v115                              // 000000009B4C: 0AE6E712
	v_mul_f32_e32 v116, v18, v116                              // 000000009B50: 0AE8E912
	v_mul_f32_e32 v117, v18, v117                              // 000000009B54: 0AEAEB12
	v_mul_f32_e32 v118, v18, v118                              // 000000009B58: 0AECED12
	v_mul_f32_e32 v119, v18, v119                              // 000000009B5C: 0AEEEF12
	v_mul_f32_e32 v120, v18, v120                              // 000000009B60: 0AF0F112
	v_mul_f32_e32 v121, v18, v121                              // 000000009B64: 0AF2F312
	v_mul_f32_e32 v122, v18, v122                              // 000000009B68: 0AF4F512
	v_mul_f32_e32 v123, v18, v123                              // 000000009B6C: 0AF6F712
	v_mul_f32_e32 v124, v18, v124                              // 000000009B70: 0AF8F912
	v_mul_f32_e32 v125, v18, v125                              // 000000009B74: 0AFAFB12
	v_mul_f32_e32 v126, v18, v126                              // 000000009B78: 0AFCFD12
	v_mul_f32_e32 v127, v18, v127                              // 000000009B7C: 0AFEFF12
	buffer_load_dwordx4 a[48:51], v28, s[16:19], 0 offen       // 000000009B80: E05C1000 8084301C
	v_mul_f32_dpp v112, v248, v112 quad_perm:[0,0,0,0] row_mask:0xf bank_mask:0xf// 000000009B88: 0AE0E0FA FF0000F8
	v_mul_f32_dpp v113, v248, v113 quad_perm:[1,1,1,1] row_mask:0xf bank_mask:0xf// 000000009B90: 0AE2E2FA FF0055F8
	v_mul_f32_dpp v114, v248, v114 quad_perm:[2,2,2,2] row_mask:0xf bank_mask:0xf// 000000009B98: 0AE4E4FA FF00AAF8
	v_mul_f32_dpp v115, v248, v115 quad_perm:[3,3,3,3] row_mask:0xf bank_mask:0xf// 000000009BA0: 0AE6E6FA FF00FFF8
	v_mul_f32_dpp v116, v249, v116 quad_perm:[0,0,0,0] row_mask:0xf bank_mask:0xf// 000000009BA8: 0AE8E8FA FF0000F9
	v_mul_f32_dpp v117, v249, v117 quad_perm:[1,1,1,1] row_mask:0xf bank_mask:0xf// 000000009BB0: 0AEAEAFA FF0055F9
	v_mul_f32_dpp v118, v249, v118 quad_perm:[2,2,2,2] row_mask:0xf bank_mask:0xf// 000000009BB8: 0AECECFA FF00AAF9
	v_mul_f32_dpp v119, v249, v119 quad_perm:[3,3,3,3] row_mask:0xf bank_mask:0xf// 000000009BC0: 0AEEEEFA FF00FFF9
	v_mul_f32_dpp v120, v250, v120 quad_perm:[0,0,0,0] row_mask:0xf bank_mask:0xf// 000000009BC8: 0AF0F0FA FF0000FA
	v_mul_f32_dpp v121, v250, v121 quad_perm:[1,1,1,1] row_mask:0xf bank_mask:0xf// 000000009BD0: 0AF2F2FA FF0055FA
	v_mul_f32_dpp v122, v250, v122 quad_perm:[2,2,2,2] row_mask:0xf bank_mask:0xf// 000000009BD8: 0AF4F4FA FF00AAFA
	v_mul_f32_dpp v123, v250, v123 quad_perm:[3,3,3,3] row_mask:0xf bank_mask:0xf// 000000009BE0: 0AF6F6FA FF00FFFA
	v_mul_f32_dpp v124, v251, v124 quad_perm:[0,0,0,0] row_mask:0xf bank_mask:0xf// 000000009BE8: 0AF8F8FA FF0000FB
	v_mul_f32_dpp v125, v251, v125 quad_perm:[1,1,1,1] row_mask:0xf bank_mask:0xf// 000000009BF0: 0AFAFAFA FF0055FB
	v_mul_f32_dpp v126, v251, v126 quad_perm:[2,2,2,2] row_mask:0xf bank_mask:0xf// 000000009BF8: 0AFCFCFA FF00AAFB
	v_mul_f32_dpp v127, v251, v127 quad_perm:[3,3,3,3] row_mask:0xf bank_mask:0xf// 000000009C00: 0AFEFEFA FF00FFFB
	buffer_load_dwordx4 a[52:55], v28, s[16:19], 0 offen offset:1024// 000000009C08: E05C1400 8084341C
	v_mov_b32_e32 v48, v112                                    // 000000009C10: 7E600370
	v_max3_f32 v48, v112, v113, v48                            // 000000009C14: D1D30030 04C2E370
	v_max3_f32 v48, v114, v115, v48                            // 000000009C1C: D1D30030 04C2E772
	v_max3_f32 v48, v116, v117, v48                            // 000000009C24: D1D30030 04C2EB74
	v_max3_f32 v48, v118, v119, v48                            // 000000009C2C: D1D30030 04C2EF76
	v_max3_f32 v48, v120, v121, v48                            // 000000009C34: D1D30030 04C2F378
	v_max3_f32 v48, v122, v123, v48                            // 000000009C3C: D1D30030 04C2F77A
	v_max3_f32 v48, v124, v125, v48                            // 000000009C44: D1D30030 04C2FB7C
	v_max3_f32 v48, v126, v127, v48                            // 000000009C4C: D1D30030 04C2FF7E
	ds_write_b32 v8, v48 offset:16896                          // 000000009C54: D81A4200 00003008
	buffer_load_dwordx4 a[56:59], v29, s[16:19], 0 offen       // 000000009C5C: E05C1000 8084381D
	v_mul_u32_u24_dpp v64, v17, v54 row_newbcast:1 row_mask:0xf bank_mask:0xf// 000000009C64: 10806CFA FF015111
	v_mul_u32_u24_dpp v65, v17, v54 row_newbcast:5 row_mask:0xf bank_mask:0xf// 000000009C6C: 10826CFA FF015511
	v_mul_u32_u24_dpp v66, v17, v54 row_newbcast:9 row_mask:0xf bank_mask:0xf// 000000009C74: 10846CFA FF015911
	v_mul_u32_u24_dpp v67, v17, v54 row_newbcast:13 row_mask:0xf bank_mask:0xf// 000000009C7C: 10866CFA FF015D11
	v_add_u32_e32 v34, v64, v6                                 // 000000009C84: 68440D40
	v_add_u32_e32 v35, v65, v6                                 // 000000009C88: 68460D41
	v_add_u32_e32 v36, v66, v6                                 // 000000009C8C: 68480D42
	v_add_u32_e32 v37, v67, v6                                 // 000000009C90: 684A0D43
	v_mul_f32_e32 v208, v49, v208                              // 000000009C94: 0BA1A131
	v_mul_f32_e32 v209, v49, v209                              // 000000009C98: 0BA3A331
	v_mul_f32_e32 v210, v49, v210                              // 000000009C9C: 0BA5A531
	v_mul_f32_e32 v211, v49, v211                              // 000000009CA0: 0BA7A731
	v_mul_f32_e32 v212, v49, v212                              // 000000009CA4: 0BA9A931
	v_mul_f32_e32 v213, v49, v213                              // 000000009CA8: 0BABAB31
	v_mul_f32_e32 v214, v49, v214                              // 000000009CAC: 0BADAD31
	v_mul_f32_e32 v215, v49, v215                              // 000000009CB0: 0BAFAF31
	s_waitcnt lgkmcnt(0)                                       // 000000009CB4: BF8CC07F
	s_barrier                                                  // 000000009CB8: BF8A0000
	ds_read_b32 v64, v7 offset:16896                           // 000000009CBC: D86C4200 40000007
	ds_read_b32 v65, v7 offset:16960                           // 000000009CC4: D86C4240 41000007
	ds_read_b32 v66, v7 offset:17024                           // 000000009CCC: D86C4280 42000007
	ds_read_b32 v67, v7 offset:17088                           // 000000009CD4: D86C42C0 43000007
	ds_read_b32 v68, v7 offset:17152                           // 000000009CDC: D86C4300 44000007
	ds_read_b32 v69, v7 offset:17216                           // 000000009CE4: D86C4340 45000007
	ds_read_b32 v70, v7 offset:17280                           // 000000009CEC: D86C4380 46000007
	ds_read_b32 v71, v7 offset:17344                           // 000000009CF4: D86C43C0 47000007
	ds_read_b32 v72, v7 offset:17408                           // 000000009CFC: D86C4400 48000007
	ds_read_b32 v73, v7 offset:17472                           // 000000009D04: D86C4440 49000007
	ds_read_b32 v74, v7 offset:17536                           // 000000009D0C: D86C4480 4A000007
	ds_read_b32 v75, v7 offset:17600                           // 000000009D14: D86C44C0 4B000007
	ds_read_b32 v76, v7 offset:17664                           // 000000009D1C: D86C4500 4C000007
	ds_read_b32 v77, v7 offset:17728                           // 000000009D24: D86C4540 4D000007
	ds_read_b32 v78, v7 offset:17792                           // 000000009D2C: D86C4580 4E000007
	ds_read_b32 v79, v7 offset:17856                           // 000000009D34: D86C45C0 4F000007
	buffer_load_dwordx4 a[60:63], v29, s[16:19], 0 offen offset:1024// 000000009D3C: E05C1400 80843C1D
	v_cvt_f32_i32_e32 v176, v176                               // 000000009D44: 7F600BB0
	v_cvt_f32_i32_e32 v177, v177                               // 000000009D48: 7F620BB1
	v_cvt_f32_i32_e32 v178, v178                               // 000000009D4C: 7F640BB2
	v_cvt_f32_i32_e32 v179, v179                               // 000000009D50: 7F660BB3
	v_cvt_f32_i32_e32 v180, v180                               // 000000009D54: 7F680BB4
	v_cvt_f32_i32_e32 v181, v181                               // 000000009D58: 7F6A0BB5
	v_cvt_f32_i32_e32 v182, v182                               // 000000009D5C: 7F6C0BB6
	v_cvt_f32_i32_e32 v183, v183                               // 000000009D60: 7F6E0BB7
	v_mul_f32_e32 v176, v44, v176                              // 000000009D64: 0B61612C
	v_mul_f32_e32 v177, v44, v177                              // 000000009D68: 0B63632C
	v_mul_f32_e32 v178, v44, v178                              // 000000009D6C: 0B65652C
	v_mul_f32_e32 v179, v44, v179                              // 000000009D70: 0B67672C
	v_mul_f32_e32 v180, v44, v180                              // 000000009D74: 0B69692C
	v_mul_f32_e32 v181, v44, v181                              // 000000009D78: 0B6B6B2C
	v_mul_f32_e32 v182, v44, v182                              // 000000009D7C: 0B6D6D2C
	v_mul_f32_e32 v183, v44, v183                              // 000000009D80: 0B6F6F2C
	s_waitcnt lgkmcnt(0)                                       // 000000009D84: BF8CC07F
	v_max3_f32 v48, v64, v65, v48                              // 000000009D88: D1D30030 04C28340
	v_max3_f32 v48, v66, v67, v48                              // 000000009D90: D1D30030 04C28742
	v_max3_f32 v48, v68, v69, v48                              // 000000009D98: D1D30030 04C28B44
	v_max3_f32 v48, v70, v71, v48                              // 000000009DA0: D1D30030 04C28F46
	v_max3_f32 v48, v72, v73, v48                              // 000000009DA8: D1D30030 04C29348
	v_max3_f32 v48, v74, v75, v48                              // 000000009DB0: D1D30030 04C2974A
	v_max3_f32 v48, v76, v77, v48                              // 000000009DB8: D1D30030 04C29B4C
	v_max3_f32 v48, v78, v79, v48                              // 000000009DC0: D1D30030 04C29F4E
	buffer_load_dwordx4 a[96:99], v34, s[20:23], 0 offen       // 000000009DC8: E05C1000 80856022
	v_mov_b32_e32 v64, 0xff800000                              // 000000009DD0: 7E8002FF FF800000
	v_cmp_eq_u32_e64 s[40:41], v64, v11                        // 000000009DD8: D0CA0028 00021740
	s_nop 1                                                    // 000000009DE0: BF800001
	v_max_f32_e32 v15, v48, v11                                // 000000009DE4: 161E1730
	v_mul_f32_e32 v53, s64, v15                                // 000000009DE8: 0A6A1E40
	v_fma_f32 v112, v112, s64, -v53                            // 000000009DEC: D1CB0070 84D48170
	v_fma_f32 v113, v113, s64, -v53                            // 000000009DF4: D1CB0071 84D48171
	v_fma_f32 v114, v114, s64, -v53                            // 000000009DFC: D1CB0072 84D48172
	v_fma_f32 v115, v115, s64, -v53                            // 000000009E04: D1CB0073 84D48173
	v_fma_f32 v116, v116, s64, -v53                            // 000000009E0C: D1CB0074 84D48174
	v_fma_f32 v117, v117, s64, -v53                            // 000000009E14: D1CB0075 84D48175
	v_fma_f32 v118, v118, s64, -v53                            // 000000009E1C: D1CB0076 84D48176
	v_fma_f32 v119, v119, s64, -v53                            // 000000009E24: D1CB0077 84D48177
	v_fma_f32 v120, v120, s64, -v53                            // 000000009E2C: D1CB0078 84D48178
	v_fma_f32 v121, v121, s64, -v53                            // 000000009E34: D1CB0079 84D48179
	v_fma_f32 v122, v122, s64, -v53                            // 000000009E3C: D1CB007A 84D4817A
	v_fma_f32 v123, v123, s64, -v53                            // 000000009E44: D1CB007B 84D4817B
	v_fma_f32 v124, v124, s64, -v53                            // 000000009E4C: D1CB007C 84D4817C
	v_fma_f32 v125, v125, s64, -v53                            // 000000009E54: D1CB007D 84D4817D
	v_fma_f32 v126, v126, s64, -v53                            // 000000009E5C: D1CB007E 84D4817E
	v_fma_f32 v127, v127, s64, -v53                            // 000000009E64: D1CB007F 84D4817F
	buffer_load_dwordx4 a[100:103], v35, s[20:23], 0 offen     // 000000009E6C: E05C1000 80856423
	v_exp_f32_e32 v112, v112                                   // 000000009E74: 7EE04170
	v_exp_f32_e32 v113, v113                                   // 000000009E78: 7EE24171
	v_exp_f32_e32 v114, v114                                   // 000000009E7C: 7EE44172
	v_exp_f32_e32 v115, v115                                   // 000000009E80: 7EE64173
	v_exp_f32_e32 v116, v116                                   // 000000009E84: 7EE84174
	v_exp_f32_e32 v117, v117                                   // 000000009E88: 7EEA4175
	v_exp_f32_e32 v118, v118                                   // 000000009E8C: 7EEC4176
	v_exp_f32_e32 v119, v119                                   // 000000009E90: 7EEE4177
	v_exp_f32_e32 v120, v120                                   // 000000009E94: 7EF04178
	v_exp_f32_e32 v121, v121                                   // 000000009E98: 7EF24179
	v_exp_f32_e32 v122, v122                                   // 000000009E9C: 7EF4417A
	v_exp_f32_e32 v123, v123                                   // 000000009EA0: 7EF6417B
	v_exp_f32_e32 v124, v124                                   // 000000009EA4: 7EF8417C
	v_exp_f32_e32 v125, v125                                   // 000000009EA8: 7EFA417D
	v_exp_f32_e32 v126, v126                                   // 000000009EAC: 7EFC417E
	v_exp_f32_e32 v127, v127                                   // 000000009EB0: 7EFE417F
	buffer_load_dwordx4 a[104:107], v36, s[20:23], 0 offen     // 000000009EB4: E05C1000 80856824
	v_mul_f32_dpp v240, v252, v112 quad_perm:[0,0,0,0] row_mask:0xf bank_mask:0xf// 000000009EBC: 0BE0E0FA FF0000FC
	v_mul_f32_dpp v241, v252, v113 quad_perm:[1,1,1,1] row_mask:0xf bank_mask:0xf// 000000009EC4: 0BE2E2FA FF0055FC
	v_mul_f32_dpp v242, v252, v114 quad_perm:[2,2,2,2] row_mask:0xf bank_mask:0xf// 000000009ECC: 0BE4E4FA FF00AAFC
	v_mul_f32_dpp v243, v252, v115 quad_perm:[3,3,3,3] row_mask:0xf bank_mask:0xf// 000000009ED4: 0BE6E6FA FF00FFFC
	v_mul_f32_dpp v244, v253, v116 quad_perm:[0,0,0,0] row_mask:0xf bank_mask:0xf// 000000009EDC: 0BE8E8FA FF0000FD
	v_mul_f32_dpp v245, v253, v117 quad_perm:[1,1,1,1] row_mask:0xf bank_mask:0xf// 000000009EE4: 0BEAEAFA FF0055FD
	v_mul_f32_dpp v246, v253, v118 quad_perm:[2,2,2,2] row_mask:0xf bank_mask:0xf// 000000009EEC: 0BECECFA FF00AAFD
	v_mul_f32_dpp v247, v253, v119 quad_perm:[3,3,3,3] row_mask:0xf bank_mask:0xf// 000000009EF4: 0BEEEEFA FF00FFFD
	v_mul_f32_dpp v248, v254, v120 quad_perm:[0,0,0,0] row_mask:0xf bank_mask:0xf// 000000009EFC: 0BF0F0FA FF0000FE
	v_mul_f32_dpp v249, v254, v121 quad_perm:[1,1,1,1] row_mask:0xf bank_mask:0xf// 000000009F04: 0BF2F2FA FF0055FE
	v_mul_f32_dpp v250, v254, v122 quad_perm:[2,2,2,2] row_mask:0xf bank_mask:0xf// 000000009F0C: 0BF4F4FA FF00AAFE
	v_mul_f32_dpp v251, v254, v123 quad_perm:[3,3,3,3] row_mask:0xf bank_mask:0xf// 000000009F14: 0BF6F6FA FF00FFFE
	v_mul_f32_dpp v252, v255, v124 quad_perm:[0,0,0,0] row_mask:0xf bank_mask:0xf// 000000009F1C: 0BF8F8FA FF0000FF
	v_mul_f32_dpp v253, v255, v125 quad_perm:[1,1,1,1] row_mask:0xf bank_mask:0xf// 000000009F24: 0BFAFAFA FF0055FF
	v_mul_f32_dpp v254, v255, v126 quad_perm:[2,2,2,2] row_mask:0xf bank_mask:0xf// 000000009F2C: 0BFCFCFA FF00AAFF
	v_mul_f32_dpp v255, v255, v127 quad_perm:[3,3,3,3] row_mask:0xf bank_mask:0xf// 000000009F34: 0BFEFEFA FF00FFFF
	v_mov_b32_e32 v48, 0x358637bd                              // 000000009F3C: 7E6002FF 358637BD
	v_max3_f32 v48, |v240|, |v241|, v48                        // 000000009F44: D1D30330 04C3E3F0
	v_max3_f32 v48, |v242|, |v243|, v48                        // 000000009F4C: D1D30330 04C3E7F2
	v_max3_f32 v48, |v244|, |v245|, v48                        // 000000009F54: D1D30330 04C3EBF4
	v_max3_f32 v48, |v246|, |v247|, v48                        // 000000009F5C: D1D30330 04C3EFF6
	v_max3_f32 v48, |v248|, |v249|, v48                        // 000000009F64: D1D30330 04C3F3F8
	v_max3_f32 v48, |v250|, |v251|, v48                        // 000000009F6C: D1D30330 04C3F7FA
	v_max3_f32 v48, |v252|, |v253|, v48                        // 000000009F74: D1D30330 04C3FBFC
	v_max3_f32 v48, |v254|, |v255|, v48                        // 000000009F7C: D1D30330 04C3FFFE
	buffer_load_dwordx4 a[108:111], v37, s[20:23], 0 offen     // 000000009F84: E05C1000 80856C25
	ds_write_b32 v8, v48 offset:20992                          // 000000009F8C: D81A5200 00003008
	v_sub_f32_e32 v49, v11, v15                                // 000000009F94: 04621F0B
	v_cndmask_b32_e64 v49, v49, 0, s[40:41]                    // 000000009F98: D1000031 00A10131
	v_mov_b32_e32 v11, v15                                     // 000000009FA0: 7E16030F
	v_mul_f32_e32 v49, s64, v49                                // 000000009FA4: 0A626240
	v_exp_f32_e32 v49, v49                                     // 000000009FA8: 7E624131
	s_waitcnt lgkmcnt(0)                                       // 000000009FAC: BF8CC07F
	s_barrier                                                  // 000000009FB0: BF8A0000
	ds_read_b32 v64, v7 offset:20992                           // 000000009FB4: D86C5200 40000007
	ds_read_b32 v65, v7 offset:21056                           // 000000009FBC: D86C5240 41000007
	ds_read_b32 v66, v7 offset:21120                           // 000000009FC4: D86C5280 42000007
	ds_read_b32 v67, v7 offset:21184                           // 000000009FCC: D86C52C0 43000007
	ds_read_b32 v68, v7 offset:21248                           // 000000009FD4: D86C5300 44000007
	ds_read_b32 v69, v7 offset:21312                           // 000000009FDC: D86C5340 45000007
	ds_read_b32 v70, v7 offset:21376                           // 000000009FE4: D86C5380 46000007
	ds_read_b32 v71, v7 offset:21440                           // 000000009FEC: D86C53C0 47000007
	ds_read_b32 v72, v7 offset:21504                           // 000000009FF4: D86C5400 48000007
	ds_read_b32 v73, v7 offset:21568                           // 000000009FFC: D86C5440 49000007
	ds_read_b32 v74, v7 offset:21632                           // 00000000A004: D86C5480 4A000007
	ds_read_b32 v75, v7 offset:21696                           // 00000000A00C: D86C54C0 4B000007
	ds_read_b32 v76, v7 offset:21760                           // 00000000A014: D86C5500 4C000007
	ds_read_b32 v77, v7 offset:21824                           // 00000000A01C: D86C5540 4D000007
	ds_read_b32 v78, v7 offset:21888                           // 00000000A024: D86C5580 4E000007
	ds_read_b32 v79, v7 offset:21952                           // 00000000A02C: D86C55C0 4F000007
	v_mul_f32_e32 v38, v49, v38                                // 00000000A034: 0A4C4D31
	v_mov_b32_e32 v15, v112                                    // 00000000A038: 7E1E0370
	v_add_f32_e32 v15, v113, v15                               // 00000000A03C: 021E1F71
	v_add_f32_e32 v15, v114, v15                               // 00000000A040: 021E1F72
	v_add_f32_e32 v15, v115, v15                               // 00000000A044: 021E1F73
	v_add_f32_e32 v15, v116, v15                               // 00000000A048: 021E1F74
	v_add_f32_e32 v15, v117, v15                               // 00000000A04C: 021E1F75
	v_add_f32_e32 v15, v118, v15                               // 00000000A050: 021E1F76
	v_add_f32_e32 v15, v119, v15                               // 00000000A054: 021E1F77
	v_add_f32_e32 v15, v120, v15                               // 00000000A058: 021E1F78
	v_add_f32_e32 v15, v121, v15                               // 00000000A05C: 021E1F79
	v_add_f32_e32 v15, v122, v15                               // 00000000A060: 021E1F7A
	v_add_f32_e32 v15, v123, v15                               // 00000000A064: 021E1F7B
	v_add_f32_e32 v15, v124, v15                               // 00000000A068: 021E1F7C
	v_add_f32_e32 v15, v125, v15                               // 00000000A06C: 021E1F7D
	v_add_f32_e32 v15, v126, v15                               // 00000000A070: 021E1F7E
	v_add_f32_e32 v15, v127, v15                               // 00000000A074: 021E1F7F
	v_add_f32_e32 v38, v15, v38                                // 00000000A078: 024C4D0F
	s_waitcnt lgkmcnt(0)                                       // 00000000A07C: BF8CC07F
	v_max3_f32 v48, |v64|, |v65|, v48                          // 00000000A080: D1D30330 04C28340
	v_max3_f32 v48, |v66|, |v67|, v48                          // 00000000A088: D1D30330 04C28742
	v_max3_f32 v48, |v68|, |v69|, v48                          // 00000000A090: D1D30330 04C28B44
	v_max3_f32 v48, |v70|, |v71|, v48                          // 00000000A098: D1D30330 04C28F46
	v_max3_f32 v48, |v72|, |v73|, v48                          // 00000000A0A0: D1D30330 04C29348
	v_max3_f32 v48, |v74|, |v75|, v48                          // 00000000A0A8: D1D30330 04C2974A
	v_max3_f32 v48, |v76|, |v77|, v48                          // 00000000A0B0: D1D30330 04C29B4C
	v_max3_f32 v48, |v78|, |v79|, v48                          // 00000000A0B8: D1D30330 04C29F4E
	s_nop 2                                                    // 00000000A0C0: BF800002
	v_rcp_f32_e32 v48, v48                                     // 00000000A0C4: 7E604530
	s_nop 1                                                    // 00000000A0C8: BF800001
	v_mul_f32_e32 v48, 0x42fe0000, v48                         // 00000000A0CC: 0A6060FF 42FE0000
	v_mul_f32_e32 v112, v48, v240                              // 00000000A0D4: 0AE1E130
	v_mul_f32_e32 v113, v48, v241                              // 00000000A0D8: 0AE3E330
	v_mul_f32_e32 v114, v48, v242                              // 00000000A0DC: 0AE5E530
	v_mul_f32_e32 v115, v48, v243                              // 00000000A0E0: 0AE7E730
	v_mul_f32_e32 v116, v48, v244                              // 00000000A0E4: 0AE9E930
	v_mul_f32_e32 v117, v48, v245                              // 00000000A0E8: 0AEBEB30
	v_mul_f32_e32 v118, v48, v246                              // 00000000A0EC: 0AEDED30
	v_mul_f32_e32 v119, v48, v247                              // 00000000A0F0: 0AEFEF30
	v_mul_f32_e32 v120, v48, v248                              // 00000000A0F4: 0AF1F130
	v_mul_f32_e32 v121, v48, v249                              // 00000000A0F8: 0AF3F330
	v_mul_f32_e32 v122, v48, v250                              // 00000000A0FC: 0AF5F530
	v_mul_f32_e32 v123, v48, v251                              // 00000000A100: 0AF7F730
	v_mul_f32_e32 v124, v48, v252                              // 00000000A104: 0AF9F930
	v_mul_f32_e32 v125, v48, v253                              // 00000000A108: 0AFBFB30
	v_mul_f32_e32 v126, v48, v254                              // 00000000A10C: 0AFDFD30
	v_mul_f32_e32 v127, v48, v255                              // 00000000A110: 0AFFFF30
	v_cvt_i32_f32_e32 v112, v112                               // 00000000A114: 7EE01170
	v_cvt_i32_f32_e32 v113, v113                               // 00000000A118: 7EE21171
	v_cvt_i32_f32_e32 v114, v114                               // 00000000A11C: 7EE41172
	v_cvt_i32_f32_e32 v115, v115                               // 00000000A120: 7EE61173
	v_cvt_i32_f32_e32 v116, v116                               // 00000000A124: 7EE81174
	v_cvt_i32_f32_e32 v117, v117                               // 00000000A128: 7EEA1175
	v_cvt_i32_f32_e32 v118, v118                               // 00000000A12C: 7EEC1176
	v_cvt_i32_f32_e32 v119, v119                               // 00000000A130: 7EEE1177
	v_cvt_i32_f32_e32 v120, v120                               // 00000000A134: 7EF01178
	v_cvt_i32_f32_e32 v121, v121                               // 00000000A138: 7EF21179
	v_cvt_i32_f32_e32 v122, v122                               // 00000000A13C: 7EF4117A
	v_cvt_i32_f32_e32 v123, v123                               // 00000000A140: 7EF6117B
	v_cvt_i32_f32_e32 v124, v124                               // 00000000A144: 7EF8117C
	v_cvt_i32_f32_e32 v125, v125                               // 00000000A148: 7EFA117D
	v_cvt_i32_f32_e32 v126, v126                               // 00000000A14C: 7EFC117E
	v_cvt_i32_f32_e32 v127, v127                               // 00000000A150: 7EFE117F
	v_perm_b32 v112, v113, v112, s53                           // 00000000A154: D1ED0070 00D6E171
	v_perm_b32 v112, v114, v112, s54                           // 00000000A15C: D1ED0070 00DAE172
	v_perm_b32 v112, v115, v112, s55                           // 00000000A164: D1ED0070 00DEE173
	v_perm_b32 v113, v117, v116, s53                           // 00000000A16C: D1ED0071 00D6E975
	v_perm_b32 v113, v118, v113, s54                           // 00000000A174: D1ED0071 00DAE376
	v_perm_b32 v113, v119, v113, s55                           // 00000000A17C: D1ED0071 00DEE377
	v_perm_b32 v114, v121, v120, s53                           // 00000000A184: D1ED0072 00D6F179
	v_perm_b32 v114, v122, v114, s54                           // 00000000A18C: D1ED0072 00DAE57A
	v_perm_b32 v114, v123, v114, s55                           // 00000000A194: D1ED0072 00DEE57B
	v_perm_b32 v115, v125, v124, s53                           // 00000000A19C: D1ED0073 00D6F97D
	v_perm_b32 v115, v126, v115, s54                           // 00000000A1A4: D1ED0073 00DAE77E
	v_perm_b32 v115, v127, v115, s55                           // 00000000A1AC: D1ED0073 00DEE77F
	ds_write_b32 v10, v112 offset:25088                        // 00000000A1B4: D81A6200 0000700A
	ds_write_b32 v10, v113 offset:26112                        // 00000000A1BC: D81A6600 0000710A
	ds_write_b32 v10, v114 offset:27136                        // 00000000A1C4: D81A6A00 0000720A
	ds_write_b32 v10, v115 offset:28160                        // 00000000A1CC: D81A6E00 0000730A
	v_add_f32_e32 v208, v208, v176                             // 00000000A1D4: 03A161D0
	v_add_f32_e32 v209, v209, v177                             // 00000000A1D8: 03A363D1
	v_add_f32_e32 v210, v210, v178                             // 00000000A1DC: 03A565D2
	v_add_f32_e32 v211, v211, v179                             // 00000000A1E0: 03A767D3
	v_add_f32_e32 v212, v212, v180                             // 00000000A1E4: 03A969D4
	v_add_f32_e32 v213, v213, v181                             // 00000000A1E8: 03AB6BD5
	v_add_f32_e32 v214, v214, v182                             // 00000000A1EC: 03AD6DD6
	v_add_f32_e32 v215, v215, v183                             // 00000000A1F0: 03AF6FD7
	v_rcp_f32_e32 v44, v48                                     // 00000000A1F4: 7E584530
	s_waitcnt lgkmcnt(0)                                       // 00000000A1F8: BF8CC07F
	s_barrier                                                  // 00000000A1FC: BF8A0000
	ds_read_b64 v[112:113], v9 offset:25088                    // 00000000A200: D8EC6200 70000009
	ds_read_b64 v[114:115], v9 offset:25216                    // 00000000A208: D8EC6280 72000009
	ds_read_b64 v[116:117], v9 offset:26112                    // 00000000A210: D8EC6600 74000009
	ds_read_b64 v[118:119], v9 offset:26240                    // 00000000A218: D8EC6680 76000009
	ds_read_b64 v[120:121], v9 offset:27136                    // 00000000A220: D8EC6A00 78000009
	ds_read_b64 v[122:123], v9 offset:27264                    // 00000000A228: D8EC6A80 7A000009
	ds_read_b64 v[124:125], v9 offset:28160                    // 00000000A230: D8EC6E00 7C000009
	ds_read_b64 v[126:127], v9 offset:28288                    // 00000000A238: D8EC6E80 7E000009
	v_mov_b32_dpp v64, v42 row_shr:4 row_mask:0xf bank_mask:0xf// 00000000A240: 7E8002FA FF01142A
	v_mov_b32_dpp v65, v42 row_shl:4 row_mask:0xf bank_mask:0xf// 00000000A248: 7E8202FA FF01042A
	v_cndmask_b32_e64 v248, v42, v64, s[44:45]                 // 00000000A250: D10000F8 00B2812A
	v_cndmask_b32_e64 v249, v65, v42, s[44:45]                 // 00000000A258: D10000F9 00B25541
	v_mov_b32_dpp v64, v248 row_shr:8 row_mask:0xf bank_mask:0xf// 00000000A260: 7E8002FA FF0118F8
	v_mov_b32_dpp v65, v248 row_shl:8 row_mask:0xf bank_mask:0xf// 00000000A268: 7E8202FA FF0108F8
	v_mov_b32_dpp v66, v249 row_shr:8 row_mask:0xf bank_mask:0xf// 00000000A270: 7E8402FA FF0118F9
	v_mov_b32_dpp v67, v249 row_shl:8 row_mask:0xf bank_mask:0xf// 00000000A278: 7E8602FA FF0108F9
	v_mov_b32_e32 v68, v248                                    // 00000000A280: 7E8803F8
	v_mov_b32_e32 v69, v249                                    // 00000000A284: 7E8A03F9
	v_cndmask_b32_e64 v248, v68, v64, s[42:43]                 // 00000000A288: D10000F8 00AA8144
	v_cndmask_b32_e64 v250, v68, v65, s[78:79]                 // 00000000A290: D10000FA 013A8344
	v_cndmask_b32_e64 v249, v69, v66, s[42:43]                 // 00000000A298: D10000F9 00AA8545
	v_cndmask_b32_e64 v251, v69, v67, s[78:79]                 // 00000000A2A0: D10000FB 013A8745
	v_mov_b32_dpp v64, v57 row_shr:4 row_mask:0xf bank_mask:0xf// 00000000A2A8: 7E8002FA FF011439
	v_mov_b32_dpp v65, v57 row_shl:4 row_mask:0xf bank_mask:0xf// 00000000A2B0: 7E8202FA FF010439
	v_cndmask_b32_e64 v252, v57, v64, s[44:45]                 // 00000000A2B8: D10000FC 00B28139
	v_cndmask_b32_e64 v253, v65, v57, s[44:45]                 // 00000000A2C0: D10000FD 00B27341
	v_mov_b32_dpp v64, v252 row_shr:8 row_mask:0xf bank_mask:0xf// 00000000A2C8: 7E8002FA FF0118FC
	v_mov_b32_dpp v65, v252 row_shl:8 row_mask:0xf bank_mask:0xf// 00000000A2D0: 7E8202FA FF0108FC
	v_mov_b32_dpp v66, v253 row_shr:8 row_mask:0xf bank_mask:0xf// 00000000A2D8: 7E8402FA FF0118FD
	v_mov_b32_dpp v67, v253 row_shl:8 row_mask:0xf bank_mask:0xf// 00000000A2E0: 7E8602FA FF0108FD
	v_mov_b32_e32 v68, v252                                    // 00000000A2E8: 7E8803FC
	v_mov_b32_e32 v69, v253                                    // 00000000A2EC: 7E8A03FD
	v_cndmask_b32_e64 v252, v68, v64, s[42:43]                 // 00000000A2F0: D10000FC 00AA8144
	v_cndmask_b32_e64 v254, v68, v65, s[78:79]                 // 00000000A2F8: D10000FE 013A8344
	v_cndmask_b32_e64 v253, v69, v66, s[42:43]                 // 00000000A300: D10000FD 00AA8545
	v_cndmask_b32_e64 v255, v69, v67, s[78:79]                 // 00000000A308: D10000FF 013A8745
	v_cvt_f32_i32_e32 v128, v128                               // 00000000A310: 7F000B80
	v_cvt_f32_i32_e32 v129, v129                               // 00000000A314: 7F020B81
	v_cvt_f32_i32_e32 v130, v130                               // 00000000A318: 7F040B82
	v_cvt_f32_i32_e32 v131, v131                               // 00000000A31C: 7F060B83
	v_cvt_f32_i32_e32 v132, v132                               // 00000000A320: 7F080B84
	v_cvt_f32_i32_e32 v133, v133                               // 00000000A324: 7F0A0B85
	v_cvt_f32_i32_e32 v134, v134                               // 00000000A328: 7F0C0B86
	v_cvt_f32_i32_e32 v135, v135                               // 00000000A32C: 7F0E0B87
	v_cvt_f32_i32_e32 v136, v136                               // 00000000A330: 7F100B88
	v_cvt_f32_i32_e32 v137, v137                               // 00000000A334: 7F120B89
	v_cvt_f32_i32_e32 v138, v138                               // 00000000A338: 7F140B8A
	v_cvt_f32_i32_e32 v139, v139                               // 00000000A33C: 7F160B8B
	v_cvt_f32_i32_e32 v140, v140                               // 00000000A340: 7F180B8C
	v_cvt_f32_i32_e32 v141, v141                               // 00000000A344: 7F1A0B8D
	v_cvt_f32_i32_e32 v142, v142                               // 00000000A348: 7F1C0B8E
	v_cvt_f32_i32_e32 v143, v143                               // 00000000A34C: 7F1E0B8F
	v_mul_f32_e32 v128, v19, v128                              // 00000000A350: 0B010113
	v_mul_f32_e32 v129, v19, v129                              // 00000000A354: 0B030313
	v_mul_f32_e32 v130, v19, v130                              // 00000000A358: 0B050513
	v_mul_f32_e32 v131, v19, v131                              // 00000000A35C: 0B070713
	v_mul_f32_e32 v132, v19, v132                              // 00000000A360: 0B090913
	v_mul_f32_e32 v133, v19, v133                              // 00000000A364: 0B0B0B13
	v_mul_f32_e32 v134, v19, v134                              // 00000000A368: 0B0D0D13
	v_mul_f32_e32 v135, v19, v135                              // 00000000A36C: 0B0F0F13
	v_mul_f32_e32 v136, v19, v136                              // 00000000A370: 0B111113
	v_mul_f32_e32 v137, v19, v137                              // 00000000A374: 0B131313
	v_mul_f32_e32 v138, v19, v138                              // 00000000A378: 0B151513
	v_mul_f32_e32 v139, v19, v139                              // 00000000A37C: 0B171713
	v_mul_f32_e32 v140, v19, v140                              // 00000000A380: 0B191913
	v_mul_f32_e32 v141, v19, v141                              // 00000000A384: 0B1B1B13
	v_mul_f32_e32 v142, v19, v142                              // 00000000A388: 0B1D1D13
	v_mul_f32_e32 v143, v19, v143                              // 00000000A38C: 0B1F1F13
	v_mul_f32_dpp v128, v248, v128 quad_perm:[0,0,0,0] row_mask:0xf bank_mask:0xf// 00000000A390: 0B0100FA FF0000F8
	v_mul_f32_dpp v129, v248, v129 quad_perm:[1,1,1,1] row_mask:0xf bank_mask:0xf// 00000000A398: 0B0302FA FF0055F8
	v_mul_f32_dpp v130, v248, v130 quad_perm:[2,2,2,2] row_mask:0xf bank_mask:0xf// 00000000A3A0: 0B0504FA FF00AAF8
	v_mul_f32_dpp v131, v248, v131 quad_perm:[3,3,3,3] row_mask:0xf bank_mask:0xf// 00000000A3A8: 0B0706FA FF00FFF8
	v_mul_f32_dpp v132, v249, v132 quad_perm:[0,0,0,0] row_mask:0xf bank_mask:0xf// 00000000A3B0: 0B0908FA FF0000F9
	v_mul_f32_dpp v133, v249, v133 quad_perm:[1,1,1,1] row_mask:0xf bank_mask:0xf// 00000000A3B8: 0B0B0AFA FF0055F9
	v_mul_f32_dpp v134, v249, v134 quad_perm:[2,2,2,2] row_mask:0xf bank_mask:0xf// 00000000A3C0: 0B0D0CFA FF00AAF9
	v_mul_f32_dpp v135, v249, v135 quad_perm:[3,3,3,3] row_mask:0xf bank_mask:0xf// 00000000A3C8: 0B0F0EFA FF00FFF9
	v_mul_f32_dpp v136, v250, v136 quad_perm:[0,0,0,0] row_mask:0xf bank_mask:0xf// 00000000A3D0: 0B1110FA FF0000FA
	v_mul_f32_dpp v137, v250, v137 quad_perm:[1,1,1,1] row_mask:0xf bank_mask:0xf// 00000000A3D8: 0B1312FA FF0055FA
	v_mul_f32_dpp v138, v250, v138 quad_perm:[2,2,2,2] row_mask:0xf bank_mask:0xf// 00000000A3E0: 0B1514FA FF00AAFA
	v_mul_f32_dpp v139, v250, v139 quad_perm:[3,3,3,3] row_mask:0xf bank_mask:0xf// 00000000A3E8: 0B1716FA FF00FFFA
	v_mul_f32_dpp v140, v251, v140 quad_perm:[0,0,0,0] row_mask:0xf bank_mask:0xf// 00000000A3F0: 0B1918FA FF0000FB
	v_mul_f32_dpp v141, v251, v141 quad_perm:[1,1,1,1] row_mask:0xf bank_mask:0xf// 00000000A3F8: 0B1B1AFA FF0055FB
	v_mul_f32_dpp v142, v251, v142 quad_perm:[2,2,2,2] row_mask:0xf bank_mask:0xf// 00000000A400: 0B1D1CFA FF00AAFB
	v_mul_f32_dpp v143, v251, v143 quad_perm:[3,3,3,3] row_mask:0xf bank_mask:0xf// 00000000A408: 0B1F1EFA FF00FFFB
	v_mov_b32_e32 v48, v128                                    // 00000000A410: 7E600380
	v_max3_f32 v48, v128, v129, v48                            // 00000000A414: D1D30030 04C30380
	v_max3_f32 v48, v130, v131, v48                            // 00000000A41C: D1D30030 04C30782
	v_max3_f32 v48, v132, v133, v48                            // 00000000A424: D1D30030 04C30B84
	v_max3_f32 v48, v134, v135, v48                            // 00000000A42C: D1D30030 04C30F86
	v_max3_f32 v48, v136, v137, v48                            // 00000000A434: D1D30030 04C31388
	v_max3_f32 v48, v138, v139, v48                            // 00000000A43C: D1D30030 04C3178A
	v_max3_f32 v48, v140, v141, v48                            // 00000000A444: D1D30030 04C31B8C
	v_max3_f32 v48, v142, v143, v48                            // 00000000A44C: D1D30030 04C31F8E
	ds_write_b32 v8, v48 offset:16896                          // 00000000A454: D81A4200 00003008
	v_mul_f32_e32 v216, v50, v216                              // 00000000A45C: 0BB1B132
	v_mul_f32_e32 v217, v50, v217                              // 00000000A460: 0BB3B332
	v_mul_f32_e32 v218, v50, v218                              // 00000000A464: 0BB5B532
	v_mul_f32_e32 v219, v50, v219                              // 00000000A468: 0BB7B732
	v_mul_f32_e32 v220, v50, v220                              // 00000000A46C: 0BB9B932
	v_mul_f32_e32 v221, v50, v221                              // 00000000A470: 0BBBBB32
	v_mul_f32_e32 v222, v50, v222                              // 00000000A474: 0BBDBD32
	v_mul_f32_e32 v223, v50, v223                              // 00000000A478: 0BBFBF32
	s_waitcnt lgkmcnt(0)                                       // 00000000A47C: BF8CC07F
	s_barrier                                                  // 00000000A480: BF8A0000
	ds_read_b32 v64, v7 offset:16896                           // 00000000A484: D86C4200 40000007
	ds_read_b32 v65, v7 offset:16960                           // 00000000A48C: D86C4240 41000007
	ds_read_b32 v66, v7 offset:17024                           // 00000000A494: D86C4280 42000007
	ds_read_b32 v67, v7 offset:17088                           // 00000000A49C: D86C42C0 43000007
	ds_read_b32 v68, v7 offset:17152                           // 00000000A4A4: D86C4300 44000007
	ds_read_b32 v69, v7 offset:17216                           // 00000000A4AC: D86C4340 45000007
	ds_read_b32 v70, v7 offset:17280                           // 00000000A4B4: D86C4380 46000007
	ds_read_b32 v71, v7 offset:17344                           // 00000000A4BC: D86C43C0 47000007
	ds_read_b32 v72, v7 offset:17408                           // 00000000A4C4: D86C4400 48000007
	ds_read_b32 v73, v7 offset:17472                           // 00000000A4CC: D86C4440 49000007
	ds_read_b32 v74, v7 offset:17536                           // 00000000A4D4: D86C4480 4A000007
	ds_read_b32 v75, v7 offset:17600                           // 00000000A4DC: D86C44C0 4B000007
	ds_read_b32 v76, v7 offset:17664                           // 00000000A4E4: D86C4500 4C000007
	ds_read_b32 v77, v7 offset:17728                           // 00000000A4EC: D86C4540 4D000007
	ds_read_b32 v78, v7 offset:17792                           // 00000000A4F4: D86C4580 4E000007
	ds_read_b32 v79, v7 offset:17856                           // 00000000A4FC: D86C45C0 4F000007
	v_cvt_f32_i32_e32 v184, v184                               // 00000000A504: 7F700BB8
	v_cvt_f32_i32_e32 v185, v185                               // 00000000A508: 7F720BB9
	v_cvt_f32_i32_e32 v186, v186                               // 00000000A50C: 7F740BBA
	v_cvt_f32_i32_e32 v187, v187                               // 00000000A510: 7F760BBB
	v_cvt_f32_i32_e32 v188, v188                               // 00000000A514: 7F780BBC
	v_cvt_f32_i32_e32 v189, v189                               // 00000000A518: 7F7A0BBD
	v_cvt_f32_i32_e32 v190, v190                               // 00000000A51C: 7F7C0BBE
	v_cvt_f32_i32_e32 v191, v191                               // 00000000A520: 7F7E0BBF
	v_mul_f32_e32 v184, v45, v184                              // 00000000A524: 0B71712D
	v_mul_f32_e32 v185, v45, v185                              // 00000000A528: 0B73732D
	v_mul_f32_e32 v186, v45, v186                              // 00000000A52C: 0B75752D
	v_mul_f32_e32 v187, v45, v187                              // 00000000A530: 0B77772D
	v_mul_f32_e32 v188, v45, v188                              // 00000000A534: 0B79792D
	v_mul_f32_e32 v189, v45, v189                              // 00000000A538: 0B7B7B2D
	v_mul_f32_e32 v190, v45, v190                              // 00000000A53C: 0B7D7D2D
	v_mul_f32_e32 v191, v45, v191                              // 00000000A540: 0B7F7F2D
	s_waitcnt lgkmcnt(0)                                       // 00000000A544: BF8CC07F
	v_max3_f32 v48, v64, v65, v48                              // 00000000A548: D1D30030 04C28340
	v_max3_f32 v48, v66, v67, v48                              // 00000000A550: D1D30030 04C28742
	v_max3_f32 v48, v68, v69, v48                              // 00000000A558: D1D30030 04C28B44
	v_max3_f32 v48, v70, v71, v48                              // 00000000A560: D1D30030 04C28F46
	v_max3_f32 v48, v72, v73, v48                              // 00000000A568: D1D30030 04C29348
	v_max3_f32 v48, v74, v75, v48                              // 00000000A570: D1D30030 04C2974A
	v_max3_f32 v48, v76, v77, v48                              // 00000000A578: D1D30030 04C29B4C
	v_max3_f32 v48, v78, v79, v48                              // 00000000A580: D1D30030 04C29F4E
	v_mov_b32_e32 v64, 0xff800000                              // 00000000A588: 7E8002FF FF800000
	v_cmp_eq_u32_e64 s[40:41], v64, v12                        // 00000000A590: D0CA0028 00021940
	s_nop 1                                                    // 00000000A598: BF800001
	v_max_f32_e32 v15, v48, v12                                // 00000000A59C: 161E1930
	v_mul_f32_e32 v53, s64, v15                                // 00000000A5A0: 0A6A1E40
	v_fma_f32 v128, v128, s64, -v53                            // 00000000A5A4: D1CB0080 84D48180
	v_fma_f32 v129, v129, s64, -v53                            // 00000000A5AC: D1CB0081 84D48181
	v_fma_f32 v130, v130, s64, -v53                            // 00000000A5B4: D1CB0082 84D48182
	v_fma_f32 v131, v131, s64, -v53                            // 00000000A5BC: D1CB0083 84D48183
	v_fma_f32 v132, v132, s64, -v53                            // 00000000A5C4: D1CB0084 84D48184
	v_fma_f32 v133, v133, s64, -v53                            // 00000000A5CC: D1CB0085 84D48185
	v_fma_f32 v134, v134, s64, -v53                            // 00000000A5D4: D1CB0086 84D48186
	v_fma_f32 v135, v135, s64, -v53                            // 00000000A5DC: D1CB0087 84D48187
	v_fma_f32 v136, v136, s64, -v53                            // 00000000A5E4: D1CB0088 84D48188
	v_fma_f32 v137, v137, s64, -v53                            // 00000000A5EC: D1CB0089 84D48189
	v_fma_f32 v138, v138, s64, -v53                            // 00000000A5F4: D1CB008A 84D4818A
	v_fma_f32 v139, v139, s64, -v53                            // 00000000A5FC: D1CB008B 84D4818B
	v_fma_f32 v140, v140, s64, -v53                            // 00000000A604: D1CB008C 84D4818C
	v_fma_f32 v141, v141, s64, -v53                            // 00000000A60C: D1CB008D 84D4818D
	v_fma_f32 v142, v142, s64, -v53                            // 00000000A614: D1CB008E 84D4818E
	v_fma_f32 v143, v143, s64, -v53                            // 00000000A61C: D1CB008F 84D4818F
	v_exp_f32_e32 v128, v128                                   // 00000000A624: 7F004180
	v_exp_f32_e32 v129, v129                                   // 00000000A628: 7F024181
	v_exp_f32_e32 v130, v130                                   // 00000000A62C: 7F044182
	v_exp_f32_e32 v131, v131                                   // 00000000A630: 7F064183
	v_exp_f32_e32 v132, v132                                   // 00000000A634: 7F084184
	v_exp_f32_e32 v133, v133                                   // 00000000A638: 7F0A4185
	v_exp_f32_e32 v134, v134                                   // 00000000A63C: 7F0C4186
	v_exp_f32_e32 v135, v135                                   // 00000000A640: 7F0E4187
	v_exp_f32_e32 v136, v136                                   // 00000000A644: 7F104188
	v_exp_f32_e32 v137, v137                                   // 00000000A648: 7F124189
	v_exp_f32_e32 v138, v138                                   // 00000000A64C: 7F14418A
	v_exp_f32_e32 v139, v139                                   // 00000000A650: 7F16418B
	v_exp_f32_e32 v140, v140                                   // 00000000A654: 7F18418C
	v_exp_f32_e32 v141, v141                                   // 00000000A658: 7F1A418D
	v_exp_f32_e32 v142, v142                                   // 00000000A65C: 7F1C418E
	v_exp_f32_e32 v143, v143                                   // 00000000A660: 7F1E418F
	v_mul_f32_dpp v240, v252, v128 quad_perm:[0,0,0,0] row_mask:0xf bank_mask:0xf// 00000000A664: 0BE100FA FF0000FC
	v_mul_f32_dpp v241, v252, v129 quad_perm:[1,1,1,1] row_mask:0xf bank_mask:0xf// 00000000A66C: 0BE302FA FF0055FC
	v_mul_f32_dpp v242, v252, v130 quad_perm:[2,2,2,2] row_mask:0xf bank_mask:0xf// 00000000A674: 0BE504FA FF00AAFC
	v_mul_f32_dpp v243, v252, v131 quad_perm:[3,3,3,3] row_mask:0xf bank_mask:0xf// 00000000A67C: 0BE706FA FF00FFFC
	v_mul_f32_dpp v244, v253, v132 quad_perm:[0,0,0,0] row_mask:0xf bank_mask:0xf// 00000000A684: 0BE908FA FF0000FD
	v_mul_f32_dpp v245, v253, v133 quad_perm:[1,1,1,1] row_mask:0xf bank_mask:0xf// 00000000A68C: 0BEB0AFA FF0055FD
	v_mul_f32_dpp v246, v253, v134 quad_perm:[2,2,2,2] row_mask:0xf bank_mask:0xf// 00000000A694: 0BED0CFA FF00AAFD
	v_mul_f32_dpp v247, v253, v135 quad_perm:[3,3,3,3] row_mask:0xf bank_mask:0xf// 00000000A69C: 0BEF0EFA FF00FFFD
	v_mul_f32_dpp v248, v254, v136 quad_perm:[0,0,0,0] row_mask:0xf bank_mask:0xf// 00000000A6A4: 0BF110FA FF0000FE
	v_mul_f32_dpp v249, v254, v137 quad_perm:[1,1,1,1] row_mask:0xf bank_mask:0xf// 00000000A6AC: 0BF312FA FF0055FE
	v_mul_f32_dpp v250, v254, v138 quad_perm:[2,2,2,2] row_mask:0xf bank_mask:0xf// 00000000A6B4: 0BF514FA FF00AAFE
	v_mul_f32_dpp v251, v254, v139 quad_perm:[3,3,3,3] row_mask:0xf bank_mask:0xf// 00000000A6BC: 0BF716FA FF00FFFE
	v_mul_f32_dpp v252, v255, v140 quad_perm:[0,0,0,0] row_mask:0xf bank_mask:0xf// 00000000A6C4: 0BF918FA FF0000FF
	v_mul_f32_dpp v253, v255, v141 quad_perm:[1,1,1,1] row_mask:0xf bank_mask:0xf// 00000000A6CC: 0BFB1AFA FF0055FF
	v_mul_f32_dpp v254, v255, v142 quad_perm:[2,2,2,2] row_mask:0xf bank_mask:0xf// 00000000A6D4: 0BFD1CFA FF00AAFF
	v_mul_f32_dpp v255, v255, v143 quad_perm:[3,3,3,3] row_mask:0xf bank_mask:0xf// 00000000A6DC: 0BFF1EFA FF00FFFF
	v_mov_b32_e32 v48, 0x358637bd                              // 00000000A6E4: 7E6002FF 358637BD
	v_max3_f32 v48, |v240|, |v241|, v48                        // 00000000A6EC: D1D30330 04C3E3F0
	v_max3_f32 v48, |v242|, |v243|, v48                        // 00000000A6F4: D1D30330 04C3E7F2
	v_max3_f32 v48, |v244|, |v245|, v48                        // 00000000A6FC: D1D30330 04C3EBF4
	v_max3_f32 v48, |v246|, |v247|, v48                        // 00000000A704: D1D30330 04C3EFF6
	v_max3_f32 v48, |v248|, |v249|, v48                        // 00000000A70C: D1D30330 04C3F3F8
	v_max3_f32 v48, |v250|, |v251|, v48                        // 00000000A714: D1D30330 04C3F7FA
	v_max3_f32 v48, |v252|, |v253|, v48                        // 00000000A71C: D1D30330 04C3FBFC
	v_max3_f32 v48, |v254|, |v255|, v48                        // 00000000A724: D1D30330 04C3FFFE
	ds_write_b32 v8, v48 offset:20992                          // 00000000A72C: D81A5200 00003008
	v_sub_f32_e32 v50, v12, v15                                // 00000000A734: 04641F0C
	v_cndmask_b32_e64 v50, v50, 0, s[40:41]                    // 00000000A738: D1000032 00A10132
	v_mov_b32_e32 v12, v15                                     // 00000000A740: 7E18030F
	v_mul_f32_e32 v50, s64, v50                                // 00000000A744: 0A646440
	v_exp_f32_e32 v50, v50                                     // 00000000A748: 7E644132
	s_waitcnt lgkmcnt(0)                                       // 00000000A74C: BF8CC07F
	s_barrier                                                  // 00000000A750: BF8A0000
	ds_read_b32 v64, v7 offset:20992                           // 00000000A754: D86C5200 40000007
	ds_read_b32 v65, v7 offset:21056                           // 00000000A75C: D86C5240 41000007
	ds_read_b32 v66, v7 offset:21120                           // 00000000A764: D86C5280 42000007
	ds_read_b32 v67, v7 offset:21184                           // 00000000A76C: D86C52C0 43000007
	ds_read_b32 v68, v7 offset:21248                           // 00000000A774: D86C5300 44000007
	ds_read_b32 v69, v7 offset:21312                           // 00000000A77C: D86C5340 45000007
	ds_read_b32 v70, v7 offset:21376                           // 00000000A784: D86C5380 46000007
	ds_read_b32 v71, v7 offset:21440                           // 00000000A78C: D86C53C0 47000007
	ds_read_b32 v72, v7 offset:21504                           // 00000000A794: D86C5400 48000007
	ds_read_b32 v73, v7 offset:21568                           // 00000000A79C: D86C5440 49000007
	ds_read_b32 v74, v7 offset:21632                           // 00000000A7A4: D86C5480 4A000007
	ds_read_b32 v75, v7 offset:21696                           // 00000000A7AC: D86C54C0 4B000007
	ds_read_b32 v76, v7 offset:21760                           // 00000000A7B4: D86C5500 4C000007
	ds_read_b32 v77, v7 offset:21824                           // 00000000A7BC: D86C5540 4D000007
	ds_read_b32 v78, v7 offset:21888                           // 00000000A7C4: D86C5580 4E000007
	ds_read_b32 v79, v7 offset:21952                           // 00000000A7CC: D86C55C0 4F000007
	v_mul_f32_e32 v39, v50, v39                                // 00000000A7D4: 0A4E4F32
	v_mov_b32_e32 v15, v128                                    // 00000000A7D8: 7E1E0380
	v_add_f32_e32 v15, v129, v15                               // 00000000A7DC: 021E1F81
	v_add_f32_e32 v15, v130, v15                               // 00000000A7E0: 021E1F82
	v_add_f32_e32 v15, v131, v15                               // 00000000A7E4: 021E1F83
	v_add_f32_e32 v15, v132, v15                               // 00000000A7E8: 021E1F84
	v_add_f32_e32 v15, v133, v15                               // 00000000A7EC: 021E1F85
	v_add_f32_e32 v15, v134, v15                               // 00000000A7F0: 021E1F86
	v_add_f32_e32 v15, v135, v15                               // 00000000A7F4: 021E1F87
	v_add_f32_e32 v15, v136, v15                               // 00000000A7F8: 021E1F88
	v_add_f32_e32 v15, v137, v15                               // 00000000A7FC: 021E1F89
	v_add_f32_e32 v15, v138, v15                               // 00000000A800: 021E1F8A
	v_add_f32_e32 v15, v139, v15                               // 00000000A804: 021E1F8B
	v_add_f32_e32 v15, v140, v15                               // 00000000A808: 021E1F8C
	v_add_f32_e32 v15, v141, v15                               // 00000000A80C: 021E1F8D
	v_add_f32_e32 v15, v142, v15                               // 00000000A810: 021E1F8E
	v_add_f32_e32 v15, v143, v15                               // 00000000A814: 021E1F8F
	v_add_f32_e32 v39, v15, v39                                // 00000000A818: 024E4F0F
	s_waitcnt lgkmcnt(0)                                       // 00000000A81C: BF8CC07F
	v_max3_f32 v48, |v64|, |v65|, v48                          // 00000000A820: D1D30330 04C28340
	v_max3_f32 v48, |v66|, |v67|, v48                          // 00000000A828: D1D30330 04C28742
	v_max3_f32 v48, |v68|, |v69|, v48                          // 00000000A830: D1D30330 04C28B44
	v_max3_f32 v48, |v70|, |v71|, v48                          // 00000000A838: D1D30330 04C28F46
	v_max3_f32 v48, |v72|, |v73|, v48                          // 00000000A840: D1D30330 04C29348
	v_max3_f32 v48, |v74|, |v75|, v48                          // 00000000A848: D1D30330 04C2974A
	v_max3_f32 v48, |v76|, |v77|, v48                          // 00000000A850: D1D30330 04C29B4C
	v_max3_f32 v48, |v78|, |v79|, v48                          // 00000000A858: D1D30330 04C29F4E
	s_nop 2                                                    // 00000000A860: BF800002
	v_rcp_f32_e32 v48, v48                                     // 00000000A864: 7E604530
	s_nop 1                                                    // 00000000A868: BF800001
	v_mul_f32_e32 v48, 0x42fe0000, v48                         // 00000000A86C: 0A6060FF 42FE0000
	v_mul_f32_e32 v128, v48, v240                              // 00000000A874: 0B01E130
	v_mul_f32_e32 v129, v48, v241                              // 00000000A878: 0B03E330
	v_mul_f32_e32 v130, v48, v242                              // 00000000A87C: 0B05E530
	v_mul_f32_e32 v131, v48, v243                              // 00000000A880: 0B07E730
	v_mul_f32_e32 v132, v48, v244                              // 00000000A884: 0B09E930
	v_mul_f32_e32 v133, v48, v245                              // 00000000A888: 0B0BEB30
	v_mul_f32_e32 v134, v48, v246                              // 00000000A88C: 0B0DED30
	v_mul_f32_e32 v135, v48, v247                              // 00000000A890: 0B0FEF30
	v_mul_f32_e32 v136, v48, v248                              // 00000000A894: 0B11F130
	v_mul_f32_e32 v137, v48, v249                              // 00000000A898: 0B13F330
	v_mul_f32_e32 v138, v48, v250                              // 00000000A89C: 0B15F530
	v_mul_f32_e32 v139, v48, v251                              // 00000000A8A0: 0B17F730
	v_mul_f32_e32 v140, v48, v252                              // 00000000A8A4: 0B19F930
	v_mul_f32_e32 v141, v48, v253                              // 00000000A8A8: 0B1BFB30
	v_mul_f32_e32 v142, v48, v254                              // 00000000A8AC: 0B1DFD30
	v_mul_f32_e32 v143, v48, v255                              // 00000000A8B0: 0B1FFF30
	v_cvt_i32_f32_e32 v128, v128                               // 00000000A8B4: 7F001180
	v_cvt_i32_f32_e32 v129, v129                               // 00000000A8B8: 7F021181
	v_cvt_i32_f32_e32 v130, v130                               // 00000000A8BC: 7F041182
	v_cvt_i32_f32_e32 v131, v131                               // 00000000A8C0: 7F061183
	v_cvt_i32_f32_e32 v132, v132                               // 00000000A8C4: 7F081184
	v_cvt_i32_f32_e32 v133, v133                               // 00000000A8C8: 7F0A1185
	v_cvt_i32_f32_e32 v134, v134                               // 00000000A8CC: 7F0C1186
	v_cvt_i32_f32_e32 v135, v135                               // 00000000A8D0: 7F0E1187
	v_cvt_i32_f32_e32 v136, v136                               // 00000000A8D4: 7F101188
	v_cvt_i32_f32_e32 v137, v137                               // 00000000A8D8: 7F121189
	v_cvt_i32_f32_e32 v138, v138                               // 00000000A8DC: 7F14118A
	v_cvt_i32_f32_e32 v139, v139                               // 00000000A8E0: 7F16118B
	v_cvt_i32_f32_e32 v140, v140                               // 00000000A8E4: 7F18118C
	v_cvt_i32_f32_e32 v141, v141                               // 00000000A8E8: 7F1A118D
	v_cvt_i32_f32_e32 v142, v142                               // 00000000A8EC: 7F1C118E
	v_cvt_i32_f32_e32 v143, v143                               // 00000000A8F0: 7F1E118F
	v_perm_b32 v128, v129, v128, s53                           // 00000000A8F4: D1ED0080 00D70181
	v_perm_b32 v128, v130, v128, s54                           // 00000000A8FC: D1ED0080 00DB0182
	v_perm_b32 v128, v131, v128, s55                           // 00000000A904: D1ED0080 00DF0183
	v_perm_b32 v129, v133, v132, s53                           // 00000000A90C: D1ED0081 00D70985
	v_perm_b32 v129, v134, v129, s54                           // 00000000A914: D1ED0081 00DB0386
	v_perm_b32 v129, v135, v129, s55                           // 00000000A91C: D1ED0081 00DF0387
	v_perm_b32 v130, v137, v136, s53                           // 00000000A924: D1ED0082 00D71189
	v_perm_b32 v130, v138, v130, s54                           // 00000000A92C: D1ED0082 00DB058A
	v_perm_b32 v130, v139, v130, s55                           // 00000000A934: D1ED0082 00DF058B
	v_perm_b32 v131, v141, v140, s53                           // 00000000A93C: D1ED0083 00D7198D
	v_perm_b32 v131, v142, v131, s54                           // 00000000A944: D1ED0083 00DB078E
	v_perm_b32 v131, v143, v131, s55                           // 00000000A94C: D1ED0083 00DF078F
	ds_write_b32 v10, v128 offset:29184                        // 00000000A954: D81A7200 0000800A
	ds_write_b32 v10, v129 offset:30208                        // 00000000A95C: D81A7600 0000810A
	ds_write_b32 v10, v130 offset:31232                        // 00000000A964: D81A7A00 0000820A
	ds_write_b32 v10, v131 offset:32256                        // 00000000A96C: D81A7E00 0000830A
	v_add_f32_e32 v216, v216, v184                             // 00000000A974: 03B171D8
	v_add_f32_e32 v217, v217, v185                             // 00000000A978: 03B373D9
	v_add_f32_e32 v218, v218, v186                             // 00000000A97C: 03B575DA
	v_add_f32_e32 v219, v219, v187                             // 00000000A980: 03B777DB
	v_add_f32_e32 v220, v220, v188                             // 00000000A984: 03B979DC
	v_add_f32_e32 v221, v221, v189                             // 00000000A988: 03BB7BDD
	v_add_f32_e32 v222, v222, v190                             // 00000000A98C: 03BD7DDE
	v_add_f32_e32 v223, v223, v191                             // 00000000A990: 03BF7FDF
	v_rcp_f32_e32 v45, v48                                     // 00000000A994: 7E5A4530
	s_waitcnt lgkmcnt(0)                                       // 00000000A998: BF8CC07F
	s_barrier                                                  // 00000000A99C: BF8A0000
	ds_read_b64 v[128:129], v9 offset:29184                    // 00000000A9A0: D8EC7200 80000009
	ds_read_b64 v[130:131], v9 offset:29312                    // 00000000A9A8: D8EC7280 82000009
	ds_read_b64 v[132:133], v9 offset:30208                    // 00000000A9B0: D8EC7600 84000009
	ds_read_b64 v[134:135], v9 offset:30336                    // 00000000A9B8: D8EC7680 86000009
	ds_read_b64 v[136:137], v9 offset:31232                    // 00000000A9C0: D8EC7A00 88000009
	ds_read_b64 v[138:139], v9 offset:31360                    // 00000000A9C8: D8EC7A80 8A000009
	ds_read_b64 v[140:141], v9 offset:32256                    // 00000000A9D0: D8EC7E00 8C000009
	ds_read_b64 v[142:143], v9 offset:32384                    // 00000000A9D8: D8EC7E80 8E000009
	s_waitcnt vmcnt(15)                                        // 00000000A9E0: BF8C0F7F
	v_mfma_i32_16x16x32_i8 v[176:179], a[64:65], v[112:113], 0 // 00000000A9E4: D3D700B0 0A02E140
	buffer_load_dwordx4 a[112:115], v34, s[20:23], 0 offen offset:1024// 00000000A9EC: E05C1400 80857022
	v_mfma_i32_16x16x32_i8 v[176:179], a[66:67], v[114:115], v[176:179]// 00000000A9F4: D3D700B0 0EC2E542
	v_mfma_i32_16x16x32_i8 v[176:179], a[68:69], v[116:117], v[176:179]// 00000000A9FC: D3D700B0 0EC2E944
	v_mfma_i32_16x16x32_i8 v[176:179], a[70:71], v[118:119], v[176:179]// 00000000AA04: D3D700B0 0EC2ED46
	v_mfma_i32_16x16x32_i8 v[176:179], a[72:73], v[120:121], v[176:179]// 00000000AA0C: D3D700B0 0EC2F148
	buffer_load_dwordx4 a[116:119], v35, s[20:23], 0 offen offset:1024// 00000000AA14: E05C1400 80857423
	v_mfma_i32_16x16x32_i8 v[176:179], a[74:75], v[122:123], v[176:179]// 00000000AA1C: D3D700B0 0EC2F54A
	v_mfma_i32_16x16x32_i8 v[176:179], a[76:77], v[124:125], v[176:179]// 00000000AA24: D3D700B0 0EC2F94C
	v_mfma_i32_16x16x32_i8 v[176:179], a[78:79], v[126:127], v[176:179]// 00000000AA2C: D3D700B0 0EC2FD4E
	v_mfma_i32_16x16x32_i8 v[180:183], a[80:81], v[112:113], 0 // 00000000AA34: D3D700B4 0A02E150
	buffer_load_dwordx4 a[120:123], v36, s[20:23], 0 offen offset:1024// 00000000AA3C: E05C1400 80857824
	v_mfma_i32_16x16x32_i8 v[180:183], a[82:83], v[114:115], v[180:183]// 00000000AA44: D3D700B4 0ED2E552
	v_mfma_i32_16x16x32_i8 v[180:183], a[84:85], v[116:117], v[180:183]// 00000000AA4C: D3D700B4 0ED2E954
	v_mfma_i32_16x16x32_i8 v[180:183], a[86:87], v[118:119], v[180:183]// 00000000AA54: D3D700B4 0ED2ED56
	v_mfma_i32_16x16x32_i8 v[180:183], a[88:89], v[120:121], v[180:183]// 00000000AA5C: D3D700B4 0ED2F158
	buffer_load_dwordx4 a[124:127], v37, s[20:23], 0 offen offset:1024// 00000000AA64: E05C1400 80857C25
	v_mfma_i32_16x16x32_i8 v[180:183], a[90:91], v[122:123], v[180:183]// 00000000AA6C: D3D700B4 0ED2F55A
	v_mfma_i32_16x16x32_i8 v[180:183], a[92:93], v[124:125], v[180:183]// 00000000AA74: D3D700B4 0ED2F95C
	s_lshr_b32 s57, s70, 4                                     // 00000000AA7C: 8F398446
	s_add_u32 s57, 48, s57                                     // 00000000AA80: 803939B0
	v_mfma_i32_16x16x32_i8 v[180:183], a[94:95], v[126:127], v[180:183]// 00000000AA84: D3D700B4 0ED2FD5E
	s_cmp_ge_u32 s57, s73                                      // 00000000AA8C: BF094939
	s_cselect_b32 s56, 0, s56                                  // 00000000AA90: 85383880
	v_mfma_i32_16x16x32_i8 v[184:187], a[64:65], v[128:129], 0 // 00000000AA94: D3D700B8 0A030140
	v_mfma_i32_16x16x32_i8 v[184:187], a[66:67], v[130:131], v[184:187]// 00000000AA9C: D3D700B8 0EE30542
	v_mfma_i32_16x16x32_i8 v[184:187], a[68:69], v[132:133], v[184:187]// 00000000AAA4: D3D700B8 0EE30944
	v_mfma_i32_16x16x32_i8 v[184:187], a[70:71], v[134:135], v[184:187]// 00000000AAAC: D3D700B8 0EE30D46
	v_mfma_i32_16x16x32_i8 v[184:187], a[72:73], v[136:137], v[184:187]// 00000000AAB4: D3D700B8 0EE31148
	v_mfma_i32_16x16x32_i8 v[184:187], a[74:75], v[138:139], v[184:187]// 00000000AABC: D3D700B8 0EE3154A
	v_mfma_i32_16x16x32_i8 v[184:187], a[76:77], v[140:141], v[184:187]// 00000000AAC4: D3D700B8 0EE3194C
	v_mfma_i32_16x16x32_i8 v[184:187], a[78:79], v[142:143], v[184:187]// 00000000AACC: D3D700B8 0EE31D4E
	v_mfma_i32_16x16x32_i8 v[188:191], a[80:81], v[128:129], 0 // 00000000AAD4: D3D700BC 0A030150
	v_mfma_i32_16x16x32_i8 v[188:191], a[82:83], v[130:131], v[188:191]// 00000000AADC: D3D700BC 0EF30552
	v_mfma_i32_16x16x32_i8 v[188:191], a[84:85], v[132:133], v[188:191]// 00000000AAE4: D3D700BC 0EF30954
	v_mfma_i32_16x16x32_i8 v[188:191], a[86:87], v[134:135], v[188:191]// 00000000AAEC: D3D700BC 0EF30D56
	v_mfma_i32_16x16x32_i8 v[188:191], a[88:89], v[136:137], v[188:191]// 00000000AAF4: D3D700BC 0EF31158
	v_mfma_i32_16x16x32_i8 v[188:191], a[90:91], v[138:139], v[188:191]// 00000000AAFC: D3D700BC 0EF3155A
	v_mfma_i32_16x16x32_i8 v[188:191], a[92:93], v[140:141], v[188:191]// 00000000AB04: D3D700BC 0EF3195C
	v_mfma_i32_16x16x32_i8 v[188:191], a[94:95], v[142:143], v[188:191]// 00000000AB0C: D3D700BC 0EF31D5E
	v_add_u32_e32 v1, s56, v1                                  // 00000000AB14: 68020238
	s_addk_i32 s70, 0x100                                      // 00000000AB18: B7460100
	s_cmp_lt_i32 s70, s71                                      // 00000000AB1C: BF044746
	s_cbranch_scc0 label_1DA8                                  // 00000000AB20: BF84FB5F
	s_waitcnt vmcnt(8) lgkmcnt(0)                              // 00000000AB24: BF8C0078
	v_mul_u32_u24_dpp v64, v16, v54 row_newbcast:0 row_mask:0xf bank_mask:0xf// 00000000AB28: 10806CFA FF015010
	v_mul_u32_u24_dpp v65, v16, v54 row_newbcast:4 row_mask:0xf bank_mask:0xf// 00000000AB30: 10826CFA FF015410
	v_mul_u32_u24_dpp v66, v16, v54 row_newbcast:8 row_mask:0xf bank_mask:0xf// 00000000AB38: 10846CFA FF015810
	v_mul_u32_u24_dpp v67, v16, v54 row_newbcast:12 row_mask:0xf bank_mask:0xf// 00000000AB40: 10866CFA FF015C10
	v_add_u32_e32 v22, v64, v5                                 // 00000000AB48: 682C0B40
	v_add_u32_e32 v23, v65, v5                                 // 00000000AB4C: 682E0B41
	v_add_u32_e32 v24, v66, v5                                 // 00000000AB50: 68300B42
	v_add_u32_e32 v25, v67, v5                                 // 00000000AB54: 68320B43
	v_mul_u32_u24_dpp v64, v16, v63 quad_perm:[0,0,0,0] row_mask:0xf bank_mask:0xf// 00000000AB58: 10807EFA FF000010
	v_add_u32_e32 v2, v64, v59                                 // 00000000AB60: 68047740
	v_mul_u32_u24_dpp v64, v16, v63 quad_perm:[0,0,0,0] row_mask:0xf bank_mask:0xf// 00000000AB64: 10807EFA FF000010
	v_add_u32_e32 v55, v64, v60                                // 00000000AB6C: 686E7940
	v_mfma_i32_16x16x32_i8 v[112:115], a[32:33], v[80:81], 0   // 00000000AB70: D3D70070 0A02A120
	buffer_load_dwordx4 a[0:3], v22, s[16:19], 0 offen         // 00000000AB78: E05C1000 80840016
	v_mfma_i32_16x16x32_i8 v[112:115], a[34:35], v[82:83], v[112:115]// 00000000AB80: D3D70070 0DC2A522
	v_mfma_i32_16x16x32_i8 v[112:115], a[36:37], v[84:85], v[112:115]// 00000000AB88: D3D70070 0DC2A924
	buffer_load_dword v17, v1, s[24:27], 0 offen               // 00000000AB90: E0501000 80061101
	v_mfma_i32_16x16x32_i8 v[112:115], a[38:39], v[86:87], v[112:115]// 00000000AB98: D3D70070 0DC2AD26
	v_mfma_i32_16x16x32_i8 v[116:119], a[40:41], v[80:81], 0   // 00000000ABA0: D3D70074 0A02A128
	buffer_load_dwordx4 a[4:7], v22, s[16:19], 0 offen offset:1024// 00000000ABA8: E05C1400 80840416
	v_mfma_i32_16x16x32_i8 v[116:119], a[42:43], v[82:83], v[116:119]// 00000000ABB0: D3D70074 0DD2A52A
	v_mfma_i32_16x16x32_i8 v[116:119], a[44:45], v[84:85], v[116:119]// 00000000ABB8: D3D70074 0DD2A92C
	v_mfma_i32_16x16x32_i8 v[116:119], a[46:47], v[86:87], v[116:119]// 00000000ABC0: D3D70074 0DD2AD2E
	v_mfma_i32_16x16x32_i8 v[120:123], a[48:49], v[80:81], 0   // 00000000ABC8: D3D70078 0A02A130
	buffer_load_dwordx4 a[8:11], v23, s[16:19], 0 offen        // 00000000ABD0: E05C1000 80840817
	v_mfma_i32_16x16x32_i8 v[120:123], a[50:51], v[82:83], v[120:123]// 00000000ABD8: D3D70078 0DE2A532
	v_mfma_i32_16x16x32_i8 v[120:123], a[52:53], v[84:85], v[120:123]// 00000000ABE0: D3D70078 0DE2A934
	v_mfma_i32_16x16x32_i8 v[120:123], a[54:55], v[86:87], v[120:123]// 00000000ABE8: D3D70078 0DE2AD36
	v_mfma_i32_16x16x32_i8 v[124:127], a[56:57], v[80:81], 0   // 00000000ABF0: D3D7007C 0A02A138
	buffer_load_dwordx4 a[12:15], v23, s[16:19], 0 offen offset:1024// 00000000ABF8: E05C1400 80840C17
	v_mfma_i32_16x16x32_i8 v[124:127], a[58:59], v[82:83], v[124:127]// 00000000AC00: D3D7007C 0DF2A53A
	v_mfma_i32_16x16x32_i8 v[124:127], a[60:61], v[84:85], v[124:127]// 00000000AC08: D3D7007C 0DF2A93C
	v_mfma_i32_16x16x32_i8 v[124:127], a[62:63], v[86:87], v[124:127]// 00000000AC10: D3D7007C 0DF2AD3E
	v_mfma_i32_16x16x32_i8 v[128:131], a[32:33], v[88:89], 0   // 00000000AC18: D3D70080 0A02B120
	v_mfma_i32_16x16x32_i8 v[128:131], a[34:35], v[90:91], v[128:131]// 00000000AC20: D3D70080 0E02B522
	v_mfma_i32_16x16x32_i8 v[128:131], a[36:37], v[92:93], v[128:131]// 00000000AC28: D3D70080 0E02B924
	v_mfma_i32_16x16x32_i8 v[128:131], a[38:39], v[94:95], v[128:131]// 00000000AC30: D3D70080 0E02BD26
	v_mfma_i32_16x16x32_i8 v[132:135], a[40:41], v[88:89], 0   // 00000000AC38: D3D70084 0A02B128
	v_mfma_i32_16x16x32_i8 v[132:135], a[42:43], v[90:91], v[132:135]// 00000000AC40: D3D70084 0E12B52A
	v_mfma_i32_16x16x32_i8 v[132:135], a[44:45], v[92:93], v[132:135]// 00000000AC48: D3D70084 0E12B92C
	v_mfma_i32_16x16x32_i8 v[132:135], a[46:47], v[94:95], v[132:135]// 00000000AC50: D3D70084 0E12BD2E
	v_mfma_i32_16x16x32_i8 v[136:139], a[48:49], v[88:89], 0   // 00000000AC58: D3D70088 0A02B130
	v_mfma_i32_16x16x32_i8 v[136:139], a[50:51], v[90:91], v[136:139]// 00000000AC60: D3D70088 0E22B532
	v_mfma_i32_16x16x32_i8 v[136:139], a[52:53], v[92:93], v[136:139]// 00000000AC68: D3D70088 0E22B934
	v_mfma_i32_16x16x32_i8 v[136:139], a[54:55], v[94:95], v[136:139]// 00000000AC70: D3D70088 0E22BD36
	v_mfma_i32_16x16x32_i8 v[140:143], a[56:57], v[88:89], 0   // 00000000AC78: D3D7008C 0A02B138
	v_mfma_i32_16x16x32_i8 v[140:143], a[58:59], v[90:91], v[140:143]// 00000000AC80: D3D7008C 0E32B53A
	v_mfma_i32_16x16x32_i8 v[140:143], a[60:61], v[92:93], v[140:143]// 00000000AC88: D3D7008C 0E32B93C
	v_mfma_i32_16x16x32_i8 v[140:143], a[62:63], v[94:95], v[140:143]// 00000000AC90: D3D7008C 0E32BD3E
	buffer_load_dword v42, v2, s[32:35], 0 offen               // 00000000AC98: E0501000 80082A02
	v_mov_b32_dpp v64, v43 row_shr:4 row_mask:0xf bank_mask:0xf// 00000000ACA0: 7E8002FA FF01142B
	v_mov_b32_dpp v65, v43 row_shl:4 row_mask:0xf bank_mask:0xf// 00000000ACA8: 7E8202FA FF01042B
	v_cndmask_b32_e64 v248, v43, v64, s[44:45]                 // 00000000ACB0: D10000F8 00B2812B
	v_cndmask_b32_e64 v249, v65, v43, s[44:45]                 // 00000000ACB8: D10000F9 00B25741
	v_mov_b32_dpp v64, v248 row_shr:8 row_mask:0xf bank_mask:0xf// 00000000ACC0: 7E8002FA FF0118F8
	v_mov_b32_dpp v65, v248 row_shl:8 row_mask:0xf bank_mask:0xf// 00000000ACC8: 7E8202FA FF0108F8
	v_mov_b32_dpp v66, v249 row_shr:8 row_mask:0xf bank_mask:0xf// 00000000ACD0: 7E8402FA FF0118F9
	v_mov_b32_dpp v67, v249 row_shl:8 row_mask:0xf bank_mask:0xf// 00000000ACD8: 7E8602FA FF0108F9
	v_mov_b32_e32 v68, v248                                    // 00000000ACE0: 7E8803F8
	v_mov_b32_e32 v69, v249                                    // 00000000ACE4: 7E8A03F9
	v_cndmask_b32_e64 v248, v68, v64, s[42:43]                 // 00000000ACE8: D10000F8 00AA8144
	v_cndmask_b32_e64 v250, v68, v65, s[78:79]                 // 00000000ACF0: D10000FA 013A8344
	v_cndmask_b32_e64 v249, v69, v66, s[42:43]                 // 00000000ACF8: D10000F9 00AA8545
	v_cndmask_b32_e64 v251, v69, v67, s[78:79]                 // 00000000AD00: D10000FB 013A8745
	v_mov_b32_dpp v64, v58 row_shr:4 row_mask:0xf bank_mask:0xf// 00000000AD08: 7E8002FA FF01143A
	v_mov_b32_dpp v65, v58 row_shl:4 row_mask:0xf bank_mask:0xf// 00000000AD10: 7E8202FA FF01043A
	v_cndmask_b32_e64 v252, v58, v64, s[44:45]                 // 00000000AD18: D10000FC 00B2813A
	v_cndmask_b32_e64 v253, v65, v58, s[44:45]                 // 00000000AD20: D10000FD 00B27541
	v_mov_b32_dpp v64, v252 row_shr:8 row_mask:0xf bank_mask:0xf// 00000000AD28: 7E8002FA FF0118FC
	v_mov_b32_dpp v65, v252 row_shl:8 row_mask:0xf bank_mask:0xf// 00000000AD30: 7E8202FA FF0108FC
	v_mov_b32_dpp v66, v253 row_shr:8 row_mask:0xf bank_mask:0xf// 00000000AD38: 7E8402FA FF0118FD
	v_mov_b32_dpp v67, v253 row_shl:8 row_mask:0xf bank_mask:0xf// 00000000AD40: 7E8602FA FF0108FD
	v_mov_b32_e32 v68, v252                                    // 00000000AD48: 7E8803FC
	v_mov_b32_e32 v69, v253                                    // 00000000AD4C: 7E8A03FD
	v_cndmask_b32_e64 v252, v68, v64, s[42:43]                 // 00000000AD50: D10000FC 00AA8144
	v_cndmask_b32_e64 v254, v68, v65, s[78:79]                 // 00000000AD58: D10000FE 013A8344
	v_cndmask_b32_e64 v253, v69, v66, s[42:43]                 // 00000000AD60: D10000FD 00AA8545
	v_cndmask_b32_e64 v255, v69, v67, s[78:79]                 // 00000000AD68: D10000FF 013A8745
	buffer_load_dword v57, v55, s[36:39], 0 offen              // 00000000AD70: E0501000 80093937
	v_cvt_f32_i32_e32 v112, v112                               // 00000000AD78: 7EE00B70
	v_cvt_f32_i32_e32 v113, v113                               // 00000000AD7C: 7EE20B71
	v_cvt_f32_i32_e32 v114, v114                               // 00000000AD80: 7EE40B72
	v_cvt_f32_i32_e32 v115, v115                               // 00000000AD84: 7EE60B73
	v_cvt_f32_i32_e32 v116, v116                               // 00000000AD88: 7EE80B74
	v_cvt_f32_i32_e32 v117, v117                               // 00000000AD8C: 7EEA0B75
	v_cvt_f32_i32_e32 v118, v118                               // 00000000AD90: 7EEC0B76
	v_cvt_f32_i32_e32 v119, v119                               // 00000000AD94: 7EEE0B77
	v_cvt_f32_i32_e32 v120, v120                               // 00000000AD98: 7EF00B78
	v_cvt_f32_i32_e32 v121, v121                               // 00000000AD9C: 7EF20B79
	v_cvt_f32_i32_e32 v122, v122                               // 00000000ADA0: 7EF40B7A
	v_cvt_f32_i32_e32 v123, v123                               // 00000000ADA4: 7EF60B7B
	v_cvt_f32_i32_e32 v124, v124                               // 00000000ADA8: 7EF80B7C
	v_cvt_f32_i32_e32 v125, v125                               // 00000000ADAC: 7EFA0B7D
	v_cvt_f32_i32_e32 v126, v126                               // 00000000ADB0: 7EFC0B7E
	v_cvt_f32_i32_e32 v127, v127                               // 00000000ADB4: 7EFE0B7F
	v_mul_f32_e32 v112, v18, v112                              // 00000000ADB8: 0AE0E112
	v_mul_f32_e32 v113, v18, v113                              // 00000000ADBC: 0AE2E312
	v_mul_f32_e32 v114, v18, v114                              // 00000000ADC0: 0AE4E512
	v_mul_f32_e32 v115, v18, v115                              // 00000000ADC4: 0AE6E712
	v_mul_f32_e32 v116, v18, v116                              // 00000000ADC8: 0AE8E912
	v_mul_f32_e32 v117, v18, v117                              // 00000000ADCC: 0AEAEB12
	v_mul_f32_e32 v118, v18, v118                              // 00000000ADD0: 0AECED12
	v_mul_f32_e32 v119, v18, v119                              // 00000000ADD4: 0AEEEF12
	v_mul_f32_e32 v120, v18, v120                              // 00000000ADD8: 0AF0F112
	v_mul_f32_e32 v121, v18, v121                              // 00000000ADDC: 0AF2F312
	v_mul_f32_e32 v122, v18, v122                              // 00000000ADE0: 0AF4F512
	v_mul_f32_e32 v123, v18, v123                              // 00000000ADE4: 0AF6F712
	v_mul_f32_e32 v124, v18, v124                              // 00000000ADE8: 0AF8F912
	v_mul_f32_e32 v125, v18, v125                              // 00000000ADEC: 0AFAFB12
	v_mul_f32_e32 v126, v18, v126                              // 00000000ADF0: 0AFCFD12
	v_mul_f32_e32 v127, v18, v127                              // 00000000ADF4: 0AFEFF12
	buffer_load_dwordx4 a[16:19], v24, s[16:19], 0 offen       // 00000000ADF8: E05C1000 80841018
	v_mul_f32_dpp v112, v248, v112 quad_perm:[0,0,0,0] row_mask:0xf bank_mask:0xf// 00000000AE00: 0AE0E0FA FF0000F8
	v_mul_f32_dpp v113, v248, v113 quad_perm:[1,1,1,1] row_mask:0xf bank_mask:0xf// 00000000AE08: 0AE2E2FA FF0055F8
	v_mul_f32_dpp v114, v248, v114 quad_perm:[2,2,2,2] row_mask:0xf bank_mask:0xf// 00000000AE10: 0AE4E4FA FF00AAF8
	v_mul_f32_dpp v115, v248, v115 quad_perm:[3,3,3,3] row_mask:0xf bank_mask:0xf// 00000000AE18: 0AE6E6FA FF00FFF8
	v_mul_f32_dpp v116, v249, v116 quad_perm:[0,0,0,0] row_mask:0xf bank_mask:0xf// 00000000AE20: 0AE8E8FA FF0000F9
	v_mul_f32_dpp v117, v249, v117 quad_perm:[1,1,1,1] row_mask:0xf bank_mask:0xf// 00000000AE28: 0AEAEAFA FF0055F9
	v_mul_f32_dpp v118, v249, v118 quad_perm:[2,2,2,2] row_mask:0xf bank_mask:0xf// 00000000AE30: 0AECECFA FF00AAF9
	v_mul_f32_dpp v119, v249, v119 quad_perm:[3,3,3,3] row_mask:0xf bank_mask:0xf// 00000000AE38: 0AEEEEFA FF00FFF9
	v_mul_f32_dpp v120, v250, v120 quad_perm:[0,0,0,0] row_mask:0xf bank_mask:0xf// 00000000AE40: 0AF0F0FA FF0000FA
	v_mul_f32_dpp v121, v250, v121 quad_perm:[1,1,1,1] row_mask:0xf bank_mask:0xf// 00000000AE48: 0AF2F2FA FF0055FA
	v_mul_f32_dpp v122, v250, v122 quad_perm:[2,2,2,2] row_mask:0xf bank_mask:0xf// 00000000AE50: 0AF4F4FA FF00AAFA
	v_mul_f32_dpp v123, v250, v123 quad_perm:[3,3,3,3] row_mask:0xf bank_mask:0xf// 00000000AE58: 0AF6F6FA FF00FFFA
	v_mul_f32_dpp v124, v251, v124 quad_perm:[0,0,0,0] row_mask:0xf bank_mask:0xf// 00000000AE60: 0AF8F8FA FF0000FB
	v_mul_f32_dpp v125, v251, v125 quad_perm:[1,1,1,1] row_mask:0xf bank_mask:0xf// 00000000AE68: 0AFAFAFA FF0055FB
	v_mul_f32_dpp v126, v251, v126 quad_perm:[2,2,2,2] row_mask:0xf bank_mask:0xf// 00000000AE70: 0AFCFCFA FF00AAFB
	v_mul_f32_dpp v127, v251, v127 quad_perm:[3,3,3,3] row_mask:0xf bank_mask:0xf// 00000000AE78: 0AFEFEFA FF00FFFB
	buffer_load_dwordx4 a[20:23], v24, s[16:19], 0 offen offset:1024// 00000000AE80: E05C1400 80841418
	v_mov_b32_e32 v48, v112                                    // 00000000AE88: 7E600370
	v_max3_f32 v48, v112, v113, v48                            // 00000000AE8C: D1D30030 04C2E370
	v_max3_f32 v48, v114, v115, v48                            // 00000000AE94: D1D30030 04C2E772
	v_max3_f32 v48, v116, v117, v48                            // 00000000AE9C: D1D30030 04C2EB74
	v_max3_f32 v48, v118, v119, v48                            // 00000000AEA4: D1D30030 04C2EF76
	v_max3_f32 v48, v120, v121, v48                            // 00000000AEAC: D1D30030 04C2F378
	v_max3_f32 v48, v122, v123, v48                            // 00000000AEB4: D1D30030 04C2F77A
	v_max3_f32 v48, v124, v125, v48                            // 00000000AEBC: D1D30030 04C2FB7C
	v_max3_f32 v48, v126, v127, v48                            // 00000000AEC4: D1D30030 04C2FF7E
	ds_write_b32 v8, v48 offset:16896                          // 00000000AECC: D81A4200 00003008
	buffer_load_dwordx4 a[24:27], v25, s[16:19], 0 offen       // 00000000AED4: E05C1000 80841819
	v_mul_u32_u24_dpp v64, v16, v54 row_newbcast:1 row_mask:0xf bank_mask:0xf// 00000000AEDC: 10806CFA FF015110
	v_mul_u32_u24_dpp v65, v16, v54 row_newbcast:5 row_mask:0xf bank_mask:0xf// 00000000AEE4: 10826CFA FF015510
	v_mul_u32_u24_dpp v66, v16, v54 row_newbcast:9 row_mask:0xf bank_mask:0xf// 00000000AEEC: 10846CFA FF015910
	v_mul_u32_u24_dpp v67, v16, v54 row_newbcast:13 row_mask:0xf bank_mask:0xf// 00000000AEF4: 10866CFA FF015D10
	v_add_u32_e32 v30, v64, v6                                 // 00000000AEFC: 683C0D40
	v_add_u32_e32 v31, v65, v6                                 // 00000000AF00: 683E0D41
	v_add_u32_e32 v32, v66, v6                                 // 00000000AF04: 68400D42
	v_add_u32_e32 v33, v67, v6                                 // 00000000AF08: 68420D43
	v_mul_f32_e32 v208, v49, v208                              // 00000000AF0C: 0BA1A131
	v_mul_f32_e32 v209, v49, v209                              // 00000000AF10: 0BA3A331
	v_mul_f32_e32 v210, v49, v210                              // 00000000AF14: 0BA5A531
	v_mul_f32_e32 v211, v49, v211                              // 00000000AF18: 0BA7A731
	v_mul_f32_e32 v212, v49, v212                              // 00000000AF1C: 0BA9A931
	v_mul_f32_e32 v213, v49, v213                              // 00000000AF20: 0BABAB31
	v_mul_f32_e32 v214, v49, v214                              // 00000000AF24: 0BADAD31
	v_mul_f32_e32 v215, v49, v215                              // 00000000AF28: 0BAFAF31
	s_waitcnt lgkmcnt(0)                                       // 00000000AF2C: BF8CC07F
	s_barrier                                                  // 00000000AF30: BF8A0000
	ds_read_b32 v64, v7 offset:16896                           // 00000000AF34: D86C4200 40000007
	ds_read_b32 v65, v7 offset:16960                           // 00000000AF3C: D86C4240 41000007
	ds_read_b32 v66, v7 offset:17024                           // 00000000AF44: D86C4280 42000007
	ds_read_b32 v67, v7 offset:17088                           // 00000000AF4C: D86C42C0 43000007
	ds_read_b32 v68, v7 offset:17152                           // 00000000AF54: D86C4300 44000007
	ds_read_b32 v69, v7 offset:17216                           // 00000000AF5C: D86C4340 45000007
	ds_read_b32 v70, v7 offset:17280                           // 00000000AF64: D86C4380 46000007
	ds_read_b32 v71, v7 offset:17344                           // 00000000AF6C: D86C43C0 47000007
	ds_read_b32 v72, v7 offset:17408                           // 00000000AF74: D86C4400 48000007
	ds_read_b32 v73, v7 offset:17472                           // 00000000AF7C: D86C4440 49000007
	ds_read_b32 v74, v7 offset:17536                           // 00000000AF84: D86C4480 4A000007
	ds_read_b32 v75, v7 offset:17600                           // 00000000AF8C: D86C44C0 4B000007
	ds_read_b32 v76, v7 offset:17664                           // 00000000AF94: D86C4500 4C000007
	ds_read_b32 v77, v7 offset:17728                           // 00000000AF9C: D86C4540 4D000007
	ds_read_b32 v78, v7 offset:17792                           // 00000000AFA4: D86C4580 4E000007
	ds_read_b32 v79, v7 offset:17856                           // 00000000AFAC: D86C45C0 4F000007
	buffer_load_dwordx4 a[28:31], v25, s[16:19], 0 offen offset:1024// 00000000AFB4: E05C1400 80841C19
	v_cvt_f32_i32_e32 v176, v176                               // 00000000AFBC: 7F600BB0
	v_cvt_f32_i32_e32 v177, v177                               // 00000000AFC0: 7F620BB1
	v_cvt_f32_i32_e32 v178, v178                               // 00000000AFC4: 7F640BB2
	v_cvt_f32_i32_e32 v179, v179                               // 00000000AFC8: 7F660BB3
	v_cvt_f32_i32_e32 v180, v180                               // 00000000AFCC: 7F680BB4
	v_cvt_f32_i32_e32 v181, v181                               // 00000000AFD0: 7F6A0BB5
	v_cvt_f32_i32_e32 v182, v182                               // 00000000AFD4: 7F6C0BB6
	v_cvt_f32_i32_e32 v183, v183                               // 00000000AFD8: 7F6E0BB7
	v_mul_f32_e32 v176, v44, v176                              // 00000000AFDC: 0B61612C
	v_mul_f32_e32 v177, v44, v177                              // 00000000AFE0: 0B63632C
	v_mul_f32_e32 v178, v44, v178                              // 00000000AFE4: 0B65652C
	v_mul_f32_e32 v179, v44, v179                              // 00000000AFE8: 0B67672C
	v_mul_f32_e32 v180, v44, v180                              // 00000000AFEC: 0B69692C
	v_mul_f32_e32 v181, v44, v181                              // 00000000AFF0: 0B6B6B2C
	v_mul_f32_e32 v182, v44, v182                              // 00000000AFF4: 0B6D6D2C
	v_mul_f32_e32 v183, v44, v183                              // 00000000AFF8: 0B6F6F2C
	s_waitcnt lgkmcnt(0)                                       // 00000000AFFC: BF8CC07F
	v_max3_f32 v48, v64, v65, v48                              // 00000000B000: D1D30030 04C28340
	v_max3_f32 v48, v66, v67, v48                              // 00000000B008: D1D30030 04C28742
	v_max3_f32 v48, v68, v69, v48                              // 00000000B010: D1D30030 04C28B44
	v_max3_f32 v48, v70, v71, v48                              // 00000000B018: D1D30030 04C28F46
	v_max3_f32 v48, v72, v73, v48                              // 00000000B020: D1D30030 04C29348
	v_max3_f32 v48, v74, v75, v48                              // 00000000B028: D1D30030 04C2974A
	v_max3_f32 v48, v76, v77, v48                              // 00000000B030: D1D30030 04C29B4C
	v_max3_f32 v48, v78, v79, v48                              // 00000000B038: D1D30030 04C29F4E
	buffer_load_dwordx4 a[64:67], v30, s[20:23], 0 offen       // 00000000B040: E05C1000 8085401E
	v_mov_b32_e32 v64, 0xff800000                              // 00000000B048: 7E8002FF FF800000
	v_cmp_eq_u32_e64 s[40:41], v64, v11                        // 00000000B050: D0CA0028 00021740
	s_nop 1                                                    // 00000000B058: BF800001
	v_max_f32_e32 v15, v48, v11                                // 00000000B05C: 161E1730
	v_mul_f32_e32 v53, s64, v15                                // 00000000B060: 0A6A1E40
	v_fma_f32 v112, v112, s64, -v53                            // 00000000B064: D1CB0070 84D48170
	v_fma_f32 v113, v113, s64, -v53                            // 00000000B06C: D1CB0071 84D48171
	v_fma_f32 v114, v114, s64, -v53                            // 00000000B074: D1CB0072 84D48172
	v_fma_f32 v115, v115, s64, -v53                            // 00000000B07C: D1CB0073 84D48173
	v_fma_f32 v116, v116, s64, -v53                            // 00000000B084: D1CB0074 84D48174
	v_fma_f32 v117, v117, s64, -v53                            // 00000000B08C: D1CB0075 84D48175
	v_fma_f32 v118, v118, s64, -v53                            // 00000000B094: D1CB0076 84D48176
	v_fma_f32 v119, v119, s64, -v53                            // 00000000B09C: D1CB0077 84D48177
	v_fma_f32 v120, v120, s64, -v53                            // 00000000B0A4: D1CB0078 84D48178
	v_fma_f32 v121, v121, s64, -v53                            // 00000000B0AC: D1CB0079 84D48179
	v_fma_f32 v122, v122, s64, -v53                            // 00000000B0B4: D1CB007A 84D4817A
	v_fma_f32 v123, v123, s64, -v53                            // 00000000B0BC: D1CB007B 84D4817B
	v_fma_f32 v124, v124, s64, -v53                            // 00000000B0C4: D1CB007C 84D4817C
	v_fma_f32 v125, v125, s64, -v53                            // 00000000B0CC: D1CB007D 84D4817D
	v_fma_f32 v126, v126, s64, -v53                            // 00000000B0D4: D1CB007E 84D4817E
	v_fma_f32 v127, v127, s64, -v53                            // 00000000B0DC: D1CB007F 84D4817F
	buffer_load_dwordx4 a[68:71], v31, s[20:23], 0 offen       // 00000000B0E4: E05C1000 8085441F
	v_exp_f32_e32 v112, v112                                   // 00000000B0EC: 7EE04170
	v_exp_f32_e32 v113, v113                                   // 00000000B0F0: 7EE24171
	v_exp_f32_e32 v114, v114                                   // 00000000B0F4: 7EE44172
	v_exp_f32_e32 v115, v115                                   // 00000000B0F8: 7EE64173
	v_exp_f32_e32 v116, v116                                   // 00000000B0FC: 7EE84174
	v_exp_f32_e32 v117, v117                                   // 00000000B100: 7EEA4175
	v_exp_f32_e32 v118, v118                                   // 00000000B104: 7EEC4176
	v_exp_f32_e32 v119, v119                                   // 00000000B108: 7EEE4177
	v_exp_f32_e32 v120, v120                                   // 00000000B10C: 7EF04178
	v_exp_f32_e32 v121, v121                                   // 00000000B110: 7EF24179
	v_exp_f32_e32 v122, v122                                   // 00000000B114: 7EF4417A
	v_exp_f32_e32 v123, v123                                   // 00000000B118: 7EF6417B
	v_exp_f32_e32 v124, v124                                   // 00000000B11C: 7EF8417C
	v_exp_f32_e32 v125, v125                                   // 00000000B120: 7EFA417D
	v_exp_f32_e32 v126, v126                                   // 00000000B124: 7EFC417E
	v_exp_f32_e32 v127, v127                                   // 00000000B128: 7EFE417F
	buffer_load_dwordx4 a[72:75], v32, s[20:23], 0 offen       // 00000000B12C: E05C1000 80854820
	v_mul_f32_dpp v240, v252, v112 quad_perm:[0,0,0,0] row_mask:0xf bank_mask:0xf// 00000000B134: 0BE0E0FA FF0000FC
	v_mul_f32_dpp v241, v252, v113 quad_perm:[1,1,1,1] row_mask:0xf bank_mask:0xf// 00000000B13C: 0BE2E2FA FF0055FC
	v_mul_f32_dpp v242, v252, v114 quad_perm:[2,2,2,2] row_mask:0xf bank_mask:0xf// 00000000B144: 0BE4E4FA FF00AAFC
	v_mul_f32_dpp v243, v252, v115 quad_perm:[3,3,3,3] row_mask:0xf bank_mask:0xf// 00000000B14C: 0BE6E6FA FF00FFFC
	v_mul_f32_dpp v244, v253, v116 quad_perm:[0,0,0,0] row_mask:0xf bank_mask:0xf// 00000000B154: 0BE8E8FA FF0000FD
	v_mul_f32_dpp v245, v253, v117 quad_perm:[1,1,1,1] row_mask:0xf bank_mask:0xf// 00000000B15C: 0BEAEAFA FF0055FD
	v_mul_f32_dpp v246, v253, v118 quad_perm:[2,2,2,2] row_mask:0xf bank_mask:0xf// 00000000B164: 0BECECFA FF00AAFD
	v_mul_f32_dpp v247, v253, v119 quad_perm:[3,3,3,3] row_mask:0xf bank_mask:0xf// 00000000B16C: 0BEEEEFA FF00FFFD
	v_mul_f32_dpp v248, v254, v120 quad_perm:[0,0,0,0] row_mask:0xf bank_mask:0xf// 00000000B174: 0BF0F0FA FF0000FE
	v_mul_f32_dpp v249, v254, v121 quad_perm:[1,1,1,1] row_mask:0xf bank_mask:0xf// 00000000B17C: 0BF2F2FA FF0055FE
	v_mul_f32_dpp v250, v254, v122 quad_perm:[2,2,2,2] row_mask:0xf bank_mask:0xf// 00000000B184: 0BF4F4FA FF00AAFE
	v_mul_f32_dpp v251, v254, v123 quad_perm:[3,3,3,3] row_mask:0xf bank_mask:0xf// 00000000B18C: 0BF6F6FA FF00FFFE
	v_mul_f32_dpp v252, v255, v124 quad_perm:[0,0,0,0] row_mask:0xf bank_mask:0xf// 00000000B194: 0BF8F8FA FF0000FF
	v_mul_f32_dpp v253, v255, v125 quad_perm:[1,1,1,1] row_mask:0xf bank_mask:0xf// 00000000B19C: 0BFAFAFA FF0055FF
	v_mul_f32_dpp v254, v255, v126 quad_perm:[2,2,2,2] row_mask:0xf bank_mask:0xf// 00000000B1A4: 0BFCFCFA FF00AAFF
	v_mul_f32_dpp v255, v255, v127 quad_perm:[3,3,3,3] row_mask:0xf bank_mask:0xf// 00000000B1AC: 0BFEFEFA FF00FFFF
	v_mov_b32_e32 v48, 0x358637bd                              // 00000000B1B4: 7E6002FF 358637BD
	v_max3_f32 v48, |v240|, |v241|, v48                        // 00000000B1BC: D1D30330 04C3E3F0
	v_max3_f32 v48, |v242|, |v243|, v48                        // 00000000B1C4: D1D30330 04C3E7F2
	v_max3_f32 v48, |v244|, |v245|, v48                        // 00000000B1CC: D1D30330 04C3EBF4
	v_max3_f32 v48, |v246|, |v247|, v48                        // 00000000B1D4: D1D30330 04C3EFF6
	v_max3_f32 v48, |v248|, |v249|, v48                        // 00000000B1DC: D1D30330 04C3F3F8
	v_max3_f32 v48, |v250|, |v251|, v48                        // 00000000B1E4: D1D30330 04C3F7FA
	v_max3_f32 v48, |v252|, |v253|, v48                        // 00000000B1EC: D1D30330 04C3FBFC
	v_max3_f32 v48, |v254|, |v255|, v48                        // 00000000B1F4: D1D30330 04C3FFFE
	buffer_load_dwordx4 a[76:79], v33, s[20:23], 0 offen       // 00000000B1FC: E05C1000 80854C21
	ds_write_b32 v8, v48 offset:20992                          // 00000000B204: D81A5200 00003008
	v_sub_f32_e32 v49, v11, v15                                // 00000000B20C: 04621F0B
	v_cndmask_b32_e64 v49, v49, 0, s[40:41]                    // 00000000B210: D1000031 00A10131
	v_mov_b32_e32 v11, v15                                     // 00000000B218: 7E16030F
	v_mul_f32_e32 v49, s64, v49                                // 00000000B21C: 0A626240
	v_exp_f32_e32 v49, v49                                     // 00000000B220: 7E624131
	s_waitcnt lgkmcnt(0)                                       // 00000000B224: BF8CC07F
	s_barrier                                                  // 00000000B228: BF8A0000
	ds_read_b32 v64, v7 offset:20992                           // 00000000B22C: D86C5200 40000007
	ds_read_b32 v65, v7 offset:21056                           // 00000000B234: D86C5240 41000007
	ds_read_b32 v66, v7 offset:21120                           // 00000000B23C: D86C5280 42000007
	ds_read_b32 v67, v7 offset:21184                           // 00000000B244: D86C52C0 43000007
	ds_read_b32 v68, v7 offset:21248                           // 00000000B24C: D86C5300 44000007
	ds_read_b32 v69, v7 offset:21312                           // 00000000B254: D86C5340 45000007
	ds_read_b32 v70, v7 offset:21376                           // 00000000B25C: D86C5380 46000007
	ds_read_b32 v71, v7 offset:21440                           // 00000000B264: D86C53C0 47000007
	ds_read_b32 v72, v7 offset:21504                           // 00000000B26C: D86C5400 48000007
	ds_read_b32 v73, v7 offset:21568                           // 00000000B274: D86C5440 49000007
	ds_read_b32 v74, v7 offset:21632                           // 00000000B27C: D86C5480 4A000007
	ds_read_b32 v75, v7 offset:21696                           // 00000000B284: D86C54C0 4B000007
	ds_read_b32 v76, v7 offset:21760                           // 00000000B28C: D86C5500 4C000007
	ds_read_b32 v77, v7 offset:21824                           // 00000000B294: D86C5540 4D000007
	ds_read_b32 v78, v7 offset:21888                           // 00000000B29C: D86C5580 4E000007
	ds_read_b32 v79, v7 offset:21952                           // 00000000B2A4: D86C55C0 4F000007
	v_mul_f32_e32 v38, v49, v38                                // 00000000B2AC: 0A4C4D31
	v_mov_b32_e32 v15, v112                                    // 00000000B2B0: 7E1E0370
	v_add_f32_e32 v15, v113, v15                               // 00000000B2B4: 021E1F71
	v_add_f32_e32 v15, v114, v15                               // 00000000B2B8: 021E1F72
	v_add_f32_e32 v15, v115, v15                               // 00000000B2BC: 021E1F73
	v_add_f32_e32 v15, v116, v15                               // 00000000B2C0: 021E1F74
	v_add_f32_e32 v15, v117, v15                               // 00000000B2C4: 021E1F75
	v_add_f32_e32 v15, v118, v15                               // 00000000B2C8: 021E1F76
	v_add_f32_e32 v15, v119, v15                               // 00000000B2CC: 021E1F77
	v_add_f32_e32 v15, v120, v15                               // 00000000B2D0: 021E1F78
	v_add_f32_e32 v15, v121, v15                               // 00000000B2D4: 021E1F79
	v_add_f32_e32 v15, v122, v15                               // 00000000B2D8: 021E1F7A
	v_add_f32_e32 v15, v123, v15                               // 00000000B2DC: 021E1F7B
	v_add_f32_e32 v15, v124, v15                               // 00000000B2E0: 021E1F7C
	v_add_f32_e32 v15, v125, v15                               // 00000000B2E4: 021E1F7D
	v_add_f32_e32 v15, v126, v15                               // 00000000B2E8: 021E1F7E
	v_add_f32_e32 v15, v127, v15                               // 00000000B2EC: 021E1F7F
	v_add_f32_e32 v38, v15, v38                                // 00000000B2F0: 024C4D0F
	s_waitcnt lgkmcnt(0)                                       // 00000000B2F4: BF8CC07F
	v_max3_f32 v48, |v64|, |v65|, v48                          // 00000000B2F8: D1D30330 04C28340
	v_max3_f32 v48, |v66|, |v67|, v48                          // 00000000B300: D1D30330 04C28742
	v_max3_f32 v48, |v68|, |v69|, v48                          // 00000000B308: D1D30330 04C28B44
	v_max3_f32 v48, |v70|, |v71|, v48                          // 00000000B310: D1D30330 04C28F46
	v_max3_f32 v48, |v72|, |v73|, v48                          // 00000000B318: D1D30330 04C29348
	v_max3_f32 v48, |v74|, |v75|, v48                          // 00000000B320: D1D30330 04C2974A
	v_max3_f32 v48, |v76|, |v77|, v48                          // 00000000B328: D1D30330 04C29B4C
	v_max3_f32 v48, |v78|, |v79|, v48                          // 00000000B330: D1D30330 04C29F4E
	s_nop 2                                                    // 00000000B338: BF800002
	v_rcp_f32_e32 v48, v48                                     // 00000000B33C: 7E604530
	s_nop 1                                                    // 00000000B340: BF800001
	v_mul_f32_e32 v48, 0x42fe0000, v48                         // 00000000B344: 0A6060FF 42FE0000
	v_mul_f32_e32 v112, v48, v240                              // 00000000B34C: 0AE1E130
	v_mul_f32_e32 v113, v48, v241                              // 00000000B350: 0AE3E330
	v_mul_f32_e32 v114, v48, v242                              // 00000000B354: 0AE5E530
	v_mul_f32_e32 v115, v48, v243                              // 00000000B358: 0AE7E730
	v_mul_f32_e32 v116, v48, v244                              // 00000000B35C: 0AE9E930
	v_mul_f32_e32 v117, v48, v245                              // 00000000B360: 0AEBEB30
	v_mul_f32_e32 v118, v48, v246                              // 00000000B364: 0AEDED30
	v_mul_f32_e32 v119, v48, v247                              // 00000000B368: 0AEFEF30
	v_mul_f32_e32 v120, v48, v248                              // 00000000B36C: 0AF1F130
	v_mul_f32_e32 v121, v48, v249                              // 00000000B370: 0AF3F330
	v_mul_f32_e32 v122, v48, v250                              // 00000000B374: 0AF5F530
	v_mul_f32_e32 v123, v48, v251                              // 00000000B378: 0AF7F730
	v_mul_f32_e32 v124, v48, v252                              // 00000000B37C: 0AF9F930
	v_mul_f32_e32 v125, v48, v253                              // 00000000B380: 0AFBFB30
	v_mul_f32_e32 v126, v48, v254                              // 00000000B384: 0AFDFD30
	v_mul_f32_e32 v127, v48, v255                              // 00000000B388: 0AFFFF30
	v_cvt_i32_f32_e32 v112, v112                               // 00000000B38C: 7EE01170
	v_cvt_i32_f32_e32 v113, v113                               // 00000000B390: 7EE21171
	v_cvt_i32_f32_e32 v114, v114                               // 00000000B394: 7EE41172
	v_cvt_i32_f32_e32 v115, v115                               // 00000000B398: 7EE61173
	v_cvt_i32_f32_e32 v116, v116                               // 00000000B39C: 7EE81174
	v_cvt_i32_f32_e32 v117, v117                               // 00000000B3A0: 7EEA1175
	v_cvt_i32_f32_e32 v118, v118                               // 00000000B3A4: 7EEC1176
	v_cvt_i32_f32_e32 v119, v119                               // 00000000B3A8: 7EEE1177
	v_cvt_i32_f32_e32 v120, v120                               // 00000000B3AC: 7EF01178
	v_cvt_i32_f32_e32 v121, v121                               // 00000000B3B0: 7EF21179
	v_cvt_i32_f32_e32 v122, v122                               // 00000000B3B4: 7EF4117A
	v_cvt_i32_f32_e32 v123, v123                               // 00000000B3B8: 7EF6117B
	v_cvt_i32_f32_e32 v124, v124                               // 00000000B3BC: 7EF8117C
	v_cvt_i32_f32_e32 v125, v125                               // 00000000B3C0: 7EFA117D
	v_cvt_i32_f32_e32 v126, v126                               // 00000000B3C4: 7EFC117E
	v_cvt_i32_f32_e32 v127, v127                               // 00000000B3C8: 7EFE117F
	v_perm_b32 v112, v113, v112, s53                           // 00000000B3CC: D1ED0070 00D6E171
	v_perm_b32 v112, v114, v112, s54                           // 00000000B3D4: D1ED0070 00DAE172
	v_perm_b32 v112, v115, v112, s55                           // 00000000B3DC: D1ED0070 00DEE173
	v_perm_b32 v113, v117, v116, s53                           // 00000000B3E4: D1ED0071 00D6E975
	v_perm_b32 v113, v118, v113, s54                           // 00000000B3EC: D1ED0071 00DAE376
	v_perm_b32 v113, v119, v113, s55                           // 00000000B3F4: D1ED0071 00DEE377
	v_perm_b32 v114, v121, v120, s53                           // 00000000B3FC: D1ED0072 00D6F179
	v_perm_b32 v114, v122, v114, s54                           // 00000000B404: D1ED0072 00DAE57A
	v_perm_b32 v114, v123, v114, s55                           // 00000000B40C: D1ED0072 00DEE57B
	v_perm_b32 v115, v125, v124, s53                           // 00000000B414: D1ED0073 00D6F97D
	v_perm_b32 v115, v126, v115, s54                           // 00000000B41C: D1ED0073 00DAE77E
	v_perm_b32 v115, v127, v115, s55                           // 00000000B424: D1ED0073 00DEE77F
	ds_write_b32 v10, v112 offset:25088                        // 00000000B42C: D81A6200 0000700A
	ds_write_b32 v10, v113 offset:26112                        // 00000000B434: D81A6600 0000710A
	ds_write_b32 v10, v114 offset:27136                        // 00000000B43C: D81A6A00 0000720A
	ds_write_b32 v10, v115 offset:28160                        // 00000000B444: D81A6E00 0000730A
	v_add_f32_e32 v208, v208, v176                             // 00000000B44C: 03A161D0
	v_add_f32_e32 v209, v209, v177                             // 00000000B450: 03A363D1
	v_add_f32_e32 v210, v210, v178                             // 00000000B454: 03A565D2
	v_add_f32_e32 v211, v211, v179                             // 00000000B458: 03A767D3
	v_add_f32_e32 v212, v212, v180                             // 00000000B45C: 03A969D4
	v_add_f32_e32 v213, v213, v181                             // 00000000B460: 03AB6BD5
	v_add_f32_e32 v214, v214, v182                             // 00000000B464: 03AD6DD6
	v_add_f32_e32 v215, v215, v183                             // 00000000B468: 03AF6FD7
	v_rcp_f32_e32 v44, v48                                     // 00000000B46C: 7E584530
	s_waitcnt lgkmcnt(0)                                       // 00000000B470: BF8CC07F
	s_barrier                                                  // 00000000B474: BF8A0000
	ds_read_b64 v[112:113], v9 offset:25088                    // 00000000B478: D8EC6200 70000009
	ds_read_b64 v[114:115], v9 offset:25216                    // 00000000B480: D8EC6280 72000009
	ds_read_b64 v[116:117], v9 offset:26112                    // 00000000B488: D8EC6600 74000009
	ds_read_b64 v[118:119], v9 offset:26240                    // 00000000B490: D8EC6680 76000009
	ds_read_b64 v[120:121], v9 offset:27136                    // 00000000B498: D8EC6A00 78000009
	ds_read_b64 v[122:123], v9 offset:27264                    // 00000000B4A0: D8EC6A80 7A000009
	ds_read_b64 v[124:125], v9 offset:28160                    // 00000000B4A8: D8EC6E00 7C000009
	ds_read_b64 v[126:127], v9 offset:28288                    // 00000000B4B0: D8EC6E80 7E000009
	v_mov_b32_dpp v64, v43 row_shr:4 row_mask:0xf bank_mask:0xf// 00000000B4B8: 7E8002FA FF01142B
	v_mov_b32_dpp v65, v43 row_shl:4 row_mask:0xf bank_mask:0xf// 00000000B4C0: 7E8202FA FF01042B
	v_cndmask_b32_e64 v248, v43, v64, s[44:45]                 // 00000000B4C8: D10000F8 00B2812B
	v_cndmask_b32_e64 v249, v65, v43, s[44:45]                 // 00000000B4D0: D10000F9 00B25741
	v_mov_b32_dpp v64, v248 row_shr:8 row_mask:0xf bank_mask:0xf// 00000000B4D8: 7E8002FA FF0118F8
	v_mov_b32_dpp v65, v248 row_shl:8 row_mask:0xf bank_mask:0xf// 00000000B4E0: 7E8202FA FF0108F8
	v_mov_b32_dpp v66, v249 row_shr:8 row_mask:0xf bank_mask:0xf// 00000000B4E8: 7E8402FA FF0118F9
	v_mov_b32_dpp v67, v249 row_shl:8 row_mask:0xf bank_mask:0xf// 00000000B4F0: 7E8602FA FF0108F9
	v_mov_b32_e32 v68, v248                                    // 00000000B4F8: 7E8803F8
	v_mov_b32_e32 v69, v249                                    // 00000000B4FC: 7E8A03F9
	v_cndmask_b32_e64 v248, v68, v64, s[42:43]                 // 00000000B500: D10000F8 00AA8144
	v_cndmask_b32_e64 v250, v68, v65, s[78:79]                 // 00000000B508: D10000FA 013A8344
	v_cndmask_b32_e64 v249, v69, v66, s[42:43]                 // 00000000B510: D10000F9 00AA8545
	v_cndmask_b32_e64 v251, v69, v67, s[78:79]                 // 00000000B518: D10000FB 013A8745
	v_mov_b32_dpp v64, v58 row_shr:4 row_mask:0xf bank_mask:0xf// 00000000B520: 7E8002FA FF01143A
	v_mov_b32_dpp v65, v58 row_shl:4 row_mask:0xf bank_mask:0xf// 00000000B528: 7E8202FA FF01043A
	v_cndmask_b32_e64 v252, v58, v64, s[44:45]                 // 00000000B530: D10000FC 00B2813A
	v_cndmask_b32_e64 v253, v65, v58, s[44:45]                 // 00000000B538: D10000FD 00B27541
	v_mov_b32_dpp v64, v252 row_shr:8 row_mask:0xf bank_mask:0xf// 00000000B540: 7E8002FA FF0118FC
	v_mov_b32_dpp v65, v252 row_shl:8 row_mask:0xf bank_mask:0xf// 00000000B548: 7E8202FA FF0108FC
	v_mov_b32_dpp v66, v253 row_shr:8 row_mask:0xf bank_mask:0xf// 00000000B550: 7E8402FA FF0118FD
	v_mov_b32_dpp v67, v253 row_shl:8 row_mask:0xf bank_mask:0xf// 00000000B558: 7E8602FA FF0108FD
	v_mov_b32_e32 v68, v252                                    // 00000000B560: 7E8803FC
	v_mov_b32_e32 v69, v253                                    // 00000000B564: 7E8A03FD
	v_cndmask_b32_e64 v252, v68, v64, s[42:43]                 // 00000000B568: D10000FC 00AA8144
	v_cndmask_b32_e64 v254, v68, v65, s[78:79]                 // 00000000B570: D10000FE 013A8344
	v_cndmask_b32_e64 v253, v69, v66, s[42:43]                 // 00000000B578: D10000FD 00AA8545
	v_cndmask_b32_e64 v255, v69, v67, s[78:79]                 // 00000000B580: D10000FF 013A8745
	v_cvt_f32_i32_e32 v128, v128                               // 00000000B588: 7F000B80
	v_cvt_f32_i32_e32 v129, v129                               // 00000000B58C: 7F020B81
	v_cvt_f32_i32_e32 v130, v130                               // 00000000B590: 7F040B82
	v_cvt_f32_i32_e32 v131, v131                               // 00000000B594: 7F060B83
	v_cvt_f32_i32_e32 v132, v132                               // 00000000B598: 7F080B84
	v_cvt_f32_i32_e32 v133, v133                               // 00000000B59C: 7F0A0B85
	v_cvt_f32_i32_e32 v134, v134                               // 00000000B5A0: 7F0C0B86
	v_cvt_f32_i32_e32 v135, v135                               // 00000000B5A4: 7F0E0B87
	v_cvt_f32_i32_e32 v136, v136                               // 00000000B5A8: 7F100B88
	v_cvt_f32_i32_e32 v137, v137                               // 00000000B5AC: 7F120B89
	v_cvt_f32_i32_e32 v138, v138                               // 00000000B5B0: 7F140B8A
	v_cvt_f32_i32_e32 v139, v139                               // 00000000B5B4: 7F160B8B
	v_cvt_f32_i32_e32 v140, v140                               // 00000000B5B8: 7F180B8C
	v_cvt_f32_i32_e32 v141, v141                               // 00000000B5BC: 7F1A0B8D
	v_cvt_f32_i32_e32 v142, v142                               // 00000000B5C0: 7F1C0B8E
	v_cvt_f32_i32_e32 v143, v143                               // 00000000B5C4: 7F1E0B8F
	v_mul_f32_e32 v128, v19, v128                              // 00000000B5C8: 0B010113
	v_mul_f32_e32 v129, v19, v129                              // 00000000B5CC: 0B030313
	v_mul_f32_e32 v130, v19, v130                              // 00000000B5D0: 0B050513
	v_mul_f32_e32 v131, v19, v131                              // 00000000B5D4: 0B070713
	v_mul_f32_e32 v132, v19, v132                              // 00000000B5D8: 0B090913
	v_mul_f32_e32 v133, v19, v133                              // 00000000B5DC: 0B0B0B13
	v_mul_f32_e32 v134, v19, v134                              // 00000000B5E0: 0B0D0D13
	v_mul_f32_e32 v135, v19, v135                              // 00000000B5E4: 0B0F0F13
	v_mul_f32_e32 v136, v19, v136                              // 00000000B5E8: 0B111113
	v_mul_f32_e32 v137, v19, v137                              // 00000000B5EC: 0B131313
	v_mul_f32_e32 v138, v19, v138                              // 00000000B5F0: 0B151513
	v_mul_f32_e32 v139, v19, v139                              // 00000000B5F4: 0B171713
	v_mul_f32_e32 v140, v19, v140                              // 00000000B5F8: 0B191913
	v_mul_f32_e32 v141, v19, v141                              // 00000000B5FC: 0B1B1B13
	v_mul_f32_e32 v142, v19, v142                              // 00000000B600: 0B1D1D13
	v_mul_f32_e32 v143, v19, v143                              // 00000000B604: 0B1F1F13
	v_mul_f32_dpp v128, v248, v128 quad_perm:[0,0,0,0] row_mask:0xf bank_mask:0xf// 00000000B608: 0B0100FA FF0000F8
	v_mul_f32_dpp v129, v248, v129 quad_perm:[1,1,1,1] row_mask:0xf bank_mask:0xf// 00000000B610: 0B0302FA FF0055F8
	v_mul_f32_dpp v130, v248, v130 quad_perm:[2,2,2,2] row_mask:0xf bank_mask:0xf// 00000000B618: 0B0504FA FF00AAF8
	v_mul_f32_dpp v131, v248, v131 quad_perm:[3,3,3,3] row_mask:0xf bank_mask:0xf// 00000000B620: 0B0706FA FF00FFF8
	v_mul_f32_dpp v132, v249, v132 quad_perm:[0,0,0,0] row_mask:0xf bank_mask:0xf// 00000000B628: 0B0908FA FF0000F9
	v_mul_f32_dpp v133, v249, v133 quad_perm:[1,1,1,1] row_mask:0xf bank_mask:0xf// 00000000B630: 0B0B0AFA FF0055F9
	v_mul_f32_dpp v134, v249, v134 quad_perm:[2,2,2,2] row_mask:0xf bank_mask:0xf// 00000000B638: 0B0D0CFA FF00AAF9
	v_mul_f32_dpp v135, v249, v135 quad_perm:[3,3,3,3] row_mask:0xf bank_mask:0xf// 00000000B640: 0B0F0EFA FF00FFF9
	v_mul_f32_dpp v136, v250, v136 quad_perm:[0,0,0,0] row_mask:0xf bank_mask:0xf// 00000000B648: 0B1110FA FF0000FA
	v_mul_f32_dpp v137, v250, v137 quad_perm:[1,1,1,1] row_mask:0xf bank_mask:0xf// 00000000B650: 0B1312FA FF0055FA
	v_mul_f32_dpp v138, v250, v138 quad_perm:[2,2,2,2] row_mask:0xf bank_mask:0xf// 00000000B658: 0B1514FA FF00AAFA
	v_mul_f32_dpp v139, v250, v139 quad_perm:[3,3,3,3] row_mask:0xf bank_mask:0xf// 00000000B660: 0B1716FA FF00FFFA
	v_mul_f32_dpp v140, v251, v140 quad_perm:[0,0,0,0] row_mask:0xf bank_mask:0xf// 00000000B668: 0B1918FA FF0000FB
	v_mul_f32_dpp v141, v251, v141 quad_perm:[1,1,1,1] row_mask:0xf bank_mask:0xf// 00000000B670: 0B1B1AFA FF0055FB
	v_mul_f32_dpp v142, v251, v142 quad_perm:[2,2,2,2] row_mask:0xf bank_mask:0xf// 00000000B678: 0B1D1CFA FF00AAFB
	v_mul_f32_dpp v143, v251, v143 quad_perm:[3,3,3,3] row_mask:0xf bank_mask:0xf// 00000000B680: 0B1F1EFA FF00FFFB
	v_mov_b32_e32 v48, v128                                    // 00000000B688: 7E600380
	v_max3_f32 v48, v128, v129, v48                            // 00000000B68C: D1D30030 04C30380
	v_max3_f32 v48, v130, v131, v48                            // 00000000B694: D1D30030 04C30782
	v_max3_f32 v48, v132, v133, v48                            // 00000000B69C: D1D30030 04C30B84
	v_max3_f32 v48, v134, v135, v48                            // 00000000B6A4: D1D30030 04C30F86
	v_max3_f32 v48, v136, v137, v48                            // 00000000B6AC: D1D30030 04C31388
	v_max3_f32 v48, v138, v139, v48                            // 00000000B6B4: D1D30030 04C3178A
	v_max3_f32 v48, v140, v141, v48                            // 00000000B6BC: D1D30030 04C31B8C
	v_max3_f32 v48, v142, v143, v48                            // 00000000B6C4: D1D30030 04C31F8E
	ds_write_b32 v8, v48 offset:16896                          // 00000000B6CC: D81A4200 00003008
	v_mul_f32_e32 v216, v50, v216                              // 00000000B6D4: 0BB1B132
	v_mul_f32_e32 v217, v50, v217                              // 00000000B6D8: 0BB3B332
	v_mul_f32_e32 v218, v50, v218                              // 00000000B6DC: 0BB5B532
	v_mul_f32_e32 v219, v50, v219                              // 00000000B6E0: 0BB7B732
	v_mul_f32_e32 v220, v50, v220                              // 00000000B6E4: 0BB9B932
	v_mul_f32_e32 v221, v50, v221                              // 00000000B6E8: 0BBBBB32
	v_mul_f32_e32 v222, v50, v222                              // 00000000B6EC: 0BBDBD32
	v_mul_f32_e32 v223, v50, v223                              // 00000000B6F0: 0BBFBF32
	s_waitcnt lgkmcnt(0)                                       // 00000000B6F4: BF8CC07F
	s_barrier                                                  // 00000000B6F8: BF8A0000
	ds_read_b32 v64, v7 offset:16896                           // 00000000B6FC: D86C4200 40000007
	ds_read_b32 v65, v7 offset:16960                           // 00000000B704: D86C4240 41000007
	ds_read_b32 v66, v7 offset:17024                           // 00000000B70C: D86C4280 42000007
	ds_read_b32 v67, v7 offset:17088                           // 00000000B714: D86C42C0 43000007
	ds_read_b32 v68, v7 offset:17152                           // 00000000B71C: D86C4300 44000007
	ds_read_b32 v69, v7 offset:17216                           // 00000000B724: D86C4340 45000007
	ds_read_b32 v70, v7 offset:17280                           // 00000000B72C: D86C4380 46000007
	ds_read_b32 v71, v7 offset:17344                           // 00000000B734: D86C43C0 47000007
	ds_read_b32 v72, v7 offset:17408                           // 00000000B73C: D86C4400 48000007
	ds_read_b32 v73, v7 offset:17472                           // 00000000B744: D86C4440 49000007
	ds_read_b32 v74, v7 offset:17536                           // 00000000B74C: D86C4480 4A000007
	ds_read_b32 v75, v7 offset:17600                           // 00000000B754: D86C44C0 4B000007
	ds_read_b32 v76, v7 offset:17664                           // 00000000B75C: D86C4500 4C000007
	ds_read_b32 v77, v7 offset:17728                           // 00000000B764: D86C4540 4D000007
	ds_read_b32 v78, v7 offset:17792                           // 00000000B76C: D86C4580 4E000007
	ds_read_b32 v79, v7 offset:17856                           // 00000000B774: D86C45C0 4F000007
	v_cvt_f32_i32_e32 v184, v184                               // 00000000B77C: 7F700BB8
	v_cvt_f32_i32_e32 v185, v185                               // 00000000B780: 7F720BB9
	v_cvt_f32_i32_e32 v186, v186                               // 00000000B784: 7F740BBA
	v_cvt_f32_i32_e32 v187, v187                               // 00000000B788: 7F760BBB
	v_cvt_f32_i32_e32 v188, v188                               // 00000000B78C: 7F780BBC
	v_cvt_f32_i32_e32 v189, v189                               // 00000000B790: 7F7A0BBD
	v_cvt_f32_i32_e32 v190, v190                               // 00000000B794: 7F7C0BBE
	v_cvt_f32_i32_e32 v191, v191                               // 00000000B798: 7F7E0BBF
	v_mul_f32_e32 v184, v45, v184                              // 00000000B79C: 0B71712D
	v_mul_f32_e32 v185, v45, v185                              // 00000000B7A0: 0B73732D
	v_mul_f32_e32 v186, v45, v186                              // 00000000B7A4: 0B75752D
	v_mul_f32_e32 v187, v45, v187                              // 00000000B7A8: 0B77772D
	v_mul_f32_e32 v188, v45, v188                              // 00000000B7AC: 0B79792D
	v_mul_f32_e32 v189, v45, v189                              // 00000000B7B0: 0B7B7B2D
	v_mul_f32_e32 v190, v45, v190                              // 00000000B7B4: 0B7D7D2D
	v_mul_f32_e32 v191, v45, v191                              // 00000000B7B8: 0B7F7F2D
	s_waitcnt lgkmcnt(0)                                       // 00000000B7BC: BF8CC07F
	v_max3_f32 v48, v64, v65, v48                              // 00000000B7C0: D1D30030 04C28340
	v_max3_f32 v48, v66, v67, v48                              // 00000000B7C8: D1D30030 04C28742
	v_max3_f32 v48, v68, v69, v48                              // 00000000B7D0: D1D30030 04C28B44
	v_max3_f32 v48, v70, v71, v48                              // 00000000B7D8: D1D30030 04C28F46
	v_max3_f32 v48, v72, v73, v48                              // 00000000B7E0: D1D30030 04C29348
	v_max3_f32 v48, v74, v75, v48                              // 00000000B7E8: D1D30030 04C2974A
	v_max3_f32 v48, v76, v77, v48                              // 00000000B7F0: D1D30030 04C29B4C
	v_max3_f32 v48, v78, v79, v48                              // 00000000B7F8: D1D30030 04C29F4E
	v_mov_b32_e32 v64, 0xff800000                              // 00000000B800: 7E8002FF FF800000
	v_cmp_eq_u32_e64 s[40:41], v64, v12                        // 00000000B808: D0CA0028 00021940
	s_nop 1                                                    // 00000000B810: BF800001
	v_max_f32_e32 v15, v48, v12                                // 00000000B814: 161E1930
	v_mul_f32_e32 v53, s64, v15                                // 00000000B818: 0A6A1E40
	v_fma_f32 v128, v128, s64, -v53                            // 00000000B81C: D1CB0080 84D48180
	v_fma_f32 v129, v129, s64, -v53                            // 00000000B824: D1CB0081 84D48181
	v_fma_f32 v130, v130, s64, -v53                            // 00000000B82C: D1CB0082 84D48182
	v_fma_f32 v131, v131, s64, -v53                            // 00000000B834: D1CB0083 84D48183
	v_fma_f32 v132, v132, s64, -v53                            // 00000000B83C: D1CB0084 84D48184
	v_fma_f32 v133, v133, s64, -v53                            // 00000000B844: D1CB0085 84D48185
	v_fma_f32 v134, v134, s64, -v53                            // 00000000B84C: D1CB0086 84D48186
	v_fma_f32 v135, v135, s64, -v53                            // 00000000B854: D1CB0087 84D48187
	v_fma_f32 v136, v136, s64, -v53                            // 00000000B85C: D1CB0088 84D48188
	v_fma_f32 v137, v137, s64, -v53                            // 00000000B864: D1CB0089 84D48189
	v_fma_f32 v138, v138, s64, -v53                            // 00000000B86C: D1CB008A 84D4818A
	v_fma_f32 v139, v139, s64, -v53                            // 00000000B874: D1CB008B 84D4818B
	v_fma_f32 v140, v140, s64, -v53                            // 00000000B87C: D1CB008C 84D4818C
	v_fma_f32 v141, v141, s64, -v53                            // 00000000B884: D1CB008D 84D4818D
	v_fma_f32 v142, v142, s64, -v53                            // 00000000B88C: D1CB008E 84D4818E
	v_fma_f32 v143, v143, s64, -v53                            // 00000000B894: D1CB008F 84D4818F
	v_exp_f32_e32 v128, v128                                   // 00000000B89C: 7F004180
	v_exp_f32_e32 v129, v129                                   // 00000000B8A0: 7F024181
	v_exp_f32_e32 v130, v130                                   // 00000000B8A4: 7F044182
	v_exp_f32_e32 v131, v131                                   // 00000000B8A8: 7F064183
	v_exp_f32_e32 v132, v132                                   // 00000000B8AC: 7F084184
	v_exp_f32_e32 v133, v133                                   // 00000000B8B0: 7F0A4185
	v_exp_f32_e32 v134, v134                                   // 00000000B8B4: 7F0C4186
	v_exp_f32_e32 v135, v135                                   // 00000000B8B8: 7F0E4187
	v_exp_f32_e32 v136, v136                                   // 00000000B8BC: 7F104188
	v_exp_f32_e32 v137, v137                                   // 00000000B8C0: 7F124189
	v_exp_f32_e32 v138, v138                                   // 00000000B8C4: 7F14418A
	v_exp_f32_e32 v139, v139                                   // 00000000B8C8: 7F16418B
	v_exp_f32_e32 v140, v140                                   // 00000000B8CC: 7F18418C
	v_exp_f32_e32 v141, v141                                   // 00000000B8D0: 7F1A418D
	v_exp_f32_e32 v142, v142                                   // 00000000B8D4: 7F1C418E
	v_exp_f32_e32 v143, v143                                   // 00000000B8D8: 7F1E418F
	v_mul_f32_dpp v240, v252, v128 quad_perm:[0,0,0,0] row_mask:0xf bank_mask:0xf// 00000000B8DC: 0BE100FA FF0000FC
	v_mul_f32_dpp v241, v252, v129 quad_perm:[1,1,1,1] row_mask:0xf bank_mask:0xf// 00000000B8E4: 0BE302FA FF0055FC
	v_mul_f32_dpp v242, v252, v130 quad_perm:[2,2,2,2] row_mask:0xf bank_mask:0xf// 00000000B8EC: 0BE504FA FF00AAFC
	v_mul_f32_dpp v243, v252, v131 quad_perm:[3,3,3,3] row_mask:0xf bank_mask:0xf// 00000000B8F4: 0BE706FA FF00FFFC
	v_mul_f32_dpp v244, v253, v132 quad_perm:[0,0,0,0] row_mask:0xf bank_mask:0xf// 00000000B8FC: 0BE908FA FF0000FD
	v_mul_f32_dpp v245, v253, v133 quad_perm:[1,1,1,1] row_mask:0xf bank_mask:0xf// 00000000B904: 0BEB0AFA FF0055FD
	v_mul_f32_dpp v246, v253, v134 quad_perm:[2,2,2,2] row_mask:0xf bank_mask:0xf// 00000000B90C: 0BED0CFA FF00AAFD
	v_mul_f32_dpp v247, v253, v135 quad_perm:[3,3,3,3] row_mask:0xf bank_mask:0xf// 00000000B914: 0BEF0EFA FF00FFFD
	v_mul_f32_dpp v248, v254, v136 quad_perm:[0,0,0,0] row_mask:0xf bank_mask:0xf// 00000000B91C: 0BF110FA FF0000FE
	v_mul_f32_dpp v249, v254, v137 quad_perm:[1,1,1,1] row_mask:0xf bank_mask:0xf// 00000000B924: 0BF312FA FF0055FE
	v_mul_f32_dpp v250, v254, v138 quad_perm:[2,2,2,2] row_mask:0xf bank_mask:0xf// 00000000B92C: 0BF514FA FF00AAFE
	v_mul_f32_dpp v251, v254, v139 quad_perm:[3,3,3,3] row_mask:0xf bank_mask:0xf// 00000000B934: 0BF716FA FF00FFFE
	v_mul_f32_dpp v252, v255, v140 quad_perm:[0,0,0,0] row_mask:0xf bank_mask:0xf// 00000000B93C: 0BF918FA FF0000FF
	v_mul_f32_dpp v253, v255, v141 quad_perm:[1,1,1,1] row_mask:0xf bank_mask:0xf// 00000000B944: 0BFB1AFA FF0055FF
	v_mul_f32_dpp v254, v255, v142 quad_perm:[2,2,2,2] row_mask:0xf bank_mask:0xf// 00000000B94C: 0BFD1CFA FF00AAFF
	v_mul_f32_dpp v255, v255, v143 quad_perm:[3,3,3,3] row_mask:0xf bank_mask:0xf// 00000000B954: 0BFF1EFA FF00FFFF
	v_mov_b32_e32 v48, 0x358637bd                              // 00000000B95C: 7E6002FF 358637BD
	v_max3_f32 v48, |v240|, |v241|, v48                        // 00000000B964: D1D30330 04C3E3F0
	v_max3_f32 v48, |v242|, |v243|, v48                        // 00000000B96C: D1D30330 04C3E7F2
	v_max3_f32 v48, |v244|, |v245|, v48                        // 00000000B974: D1D30330 04C3EBF4
	v_max3_f32 v48, |v246|, |v247|, v48                        // 00000000B97C: D1D30330 04C3EFF6
	v_max3_f32 v48, |v248|, |v249|, v48                        // 00000000B984: D1D30330 04C3F3F8
	v_max3_f32 v48, |v250|, |v251|, v48                        // 00000000B98C: D1D30330 04C3F7FA
	v_max3_f32 v48, |v252|, |v253|, v48                        // 00000000B994: D1D30330 04C3FBFC
	v_max3_f32 v48, |v254|, |v255|, v48                        // 00000000B99C: D1D30330 04C3FFFE
	ds_write_b32 v8, v48 offset:20992                          // 00000000B9A4: D81A5200 00003008
	v_sub_f32_e32 v50, v12, v15                                // 00000000B9AC: 04641F0C
	v_cndmask_b32_e64 v50, v50, 0, s[40:41]                    // 00000000B9B0: D1000032 00A10132
	v_mov_b32_e32 v12, v15                                     // 00000000B9B8: 7E18030F
	v_mul_f32_e32 v50, s64, v50                                // 00000000B9BC: 0A646440
	v_exp_f32_e32 v50, v50                                     // 00000000B9C0: 7E644132
	s_waitcnt lgkmcnt(0)                                       // 00000000B9C4: BF8CC07F
	s_barrier                                                  // 00000000B9C8: BF8A0000
	ds_read_b32 v64, v7 offset:20992                           // 00000000B9CC: D86C5200 40000007
	ds_read_b32 v65, v7 offset:21056                           // 00000000B9D4: D86C5240 41000007
	ds_read_b32 v66, v7 offset:21120                           // 00000000B9DC: D86C5280 42000007
	ds_read_b32 v67, v7 offset:21184                           // 00000000B9E4: D86C52C0 43000007
	ds_read_b32 v68, v7 offset:21248                           // 00000000B9EC: D86C5300 44000007
	ds_read_b32 v69, v7 offset:21312                           // 00000000B9F4: D86C5340 45000007
	ds_read_b32 v70, v7 offset:21376                           // 00000000B9FC: D86C5380 46000007
	ds_read_b32 v71, v7 offset:21440                           // 00000000BA04: D86C53C0 47000007
	ds_read_b32 v72, v7 offset:21504                           // 00000000BA0C: D86C5400 48000007
	ds_read_b32 v73, v7 offset:21568                           // 00000000BA14: D86C5440 49000007
	ds_read_b32 v74, v7 offset:21632                           // 00000000BA1C: D86C5480 4A000007
	ds_read_b32 v75, v7 offset:21696                           // 00000000BA24: D86C54C0 4B000007
	ds_read_b32 v76, v7 offset:21760                           // 00000000BA2C: D86C5500 4C000007
	ds_read_b32 v77, v7 offset:21824                           // 00000000BA34: D86C5540 4D000007
	ds_read_b32 v78, v7 offset:21888                           // 00000000BA3C: D86C5580 4E000007
	ds_read_b32 v79, v7 offset:21952                           // 00000000BA44: D86C55C0 4F000007
	v_mul_f32_e32 v39, v50, v39                                // 00000000BA4C: 0A4E4F32
	v_mov_b32_e32 v15, v128                                    // 00000000BA50: 7E1E0380
	v_add_f32_e32 v15, v129, v15                               // 00000000BA54: 021E1F81
	v_add_f32_e32 v15, v130, v15                               // 00000000BA58: 021E1F82
	v_add_f32_e32 v15, v131, v15                               // 00000000BA5C: 021E1F83
	v_add_f32_e32 v15, v132, v15                               // 00000000BA60: 021E1F84
	v_add_f32_e32 v15, v133, v15                               // 00000000BA64: 021E1F85
	v_add_f32_e32 v15, v134, v15                               // 00000000BA68: 021E1F86
	v_add_f32_e32 v15, v135, v15                               // 00000000BA6C: 021E1F87
	v_add_f32_e32 v15, v136, v15                               // 00000000BA70: 021E1F88
	v_add_f32_e32 v15, v137, v15                               // 00000000BA74: 021E1F89
	v_add_f32_e32 v15, v138, v15                               // 00000000BA78: 021E1F8A
	v_add_f32_e32 v15, v139, v15                               // 00000000BA7C: 021E1F8B
	v_add_f32_e32 v15, v140, v15                               // 00000000BA80: 021E1F8C
	v_add_f32_e32 v15, v141, v15                               // 00000000BA84: 021E1F8D
	v_add_f32_e32 v15, v142, v15                               // 00000000BA88: 021E1F8E
	v_add_f32_e32 v15, v143, v15                               // 00000000BA8C: 021E1F8F
	v_add_f32_e32 v39, v15, v39                                // 00000000BA90: 024E4F0F
	s_waitcnt lgkmcnt(0)                                       // 00000000BA94: BF8CC07F
	v_max3_f32 v48, |v64|, |v65|, v48                          // 00000000BA98: D1D30330 04C28340
	v_max3_f32 v48, |v66|, |v67|, v48                          // 00000000BAA0: D1D30330 04C28742
	v_max3_f32 v48, |v68|, |v69|, v48                          // 00000000BAA8: D1D30330 04C28B44
	v_max3_f32 v48, |v70|, |v71|, v48                          // 00000000BAB0: D1D30330 04C28F46
	v_max3_f32 v48, |v72|, |v73|, v48                          // 00000000BAB8: D1D30330 04C29348
	v_max3_f32 v48, |v74|, |v75|, v48                          // 00000000BAC0: D1D30330 04C2974A
	v_max3_f32 v48, |v76|, |v77|, v48                          // 00000000BAC8: D1D30330 04C29B4C
	v_max3_f32 v48, |v78|, |v79|, v48                          // 00000000BAD0: D1D30330 04C29F4E
	s_nop 2                                                    // 00000000BAD8: BF800002
	v_rcp_f32_e32 v48, v48                                     // 00000000BADC: 7E604530
	s_nop 1                                                    // 00000000BAE0: BF800001
	v_mul_f32_e32 v48, 0x42fe0000, v48                         // 00000000BAE4: 0A6060FF 42FE0000
	v_mul_f32_e32 v128, v48, v240                              // 00000000BAEC: 0B01E130
	v_mul_f32_e32 v129, v48, v241                              // 00000000BAF0: 0B03E330
	v_mul_f32_e32 v130, v48, v242                              // 00000000BAF4: 0B05E530
	v_mul_f32_e32 v131, v48, v243                              // 00000000BAF8: 0B07E730
	v_mul_f32_e32 v132, v48, v244                              // 00000000BAFC: 0B09E930
	v_mul_f32_e32 v133, v48, v245                              // 00000000BB00: 0B0BEB30
	v_mul_f32_e32 v134, v48, v246                              // 00000000BB04: 0B0DED30
	v_mul_f32_e32 v135, v48, v247                              // 00000000BB08: 0B0FEF30
	v_mul_f32_e32 v136, v48, v248                              // 00000000BB0C: 0B11F130
	v_mul_f32_e32 v137, v48, v249                              // 00000000BB10: 0B13F330
	v_mul_f32_e32 v138, v48, v250                              // 00000000BB14: 0B15F530
	v_mul_f32_e32 v139, v48, v251                              // 00000000BB18: 0B17F730
	v_mul_f32_e32 v140, v48, v252                              // 00000000BB1C: 0B19F930
	v_mul_f32_e32 v141, v48, v253                              // 00000000BB20: 0B1BFB30
	v_mul_f32_e32 v142, v48, v254                              // 00000000BB24: 0B1DFD30
	v_mul_f32_e32 v143, v48, v255                              // 00000000BB28: 0B1FFF30
	v_cvt_i32_f32_e32 v128, v128                               // 00000000BB2C: 7F001180
	v_cvt_i32_f32_e32 v129, v129                               // 00000000BB30: 7F021181
	v_cvt_i32_f32_e32 v130, v130                               // 00000000BB34: 7F041182
	v_cvt_i32_f32_e32 v131, v131                               // 00000000BB38: 7F061183
	v_cvt_i32_f32_e32 v132, v132                               // 00000000BB3C: 7F081184
	v_cvt_i32_f32_e32 v133, v133                               // 00000000BB40: 7F0A1185
	v_cvt_i32_f32_e32 v134, v134                               // 00000000BB44: 7F0C1186
	v_cvt_i32_f32_e32 v135, v135                               // 00000000BB48: 7F0E1187
	v_cvt_i32_f32_e32 v136, v136                               // 00000000BB4C: 7F101188
	v_cvt_i32_f32_e32 v137, v137                               // 00000000BB50: 7F121189
	v_cvt_i32_f32_e32 v138, v138                               // 00000000BB54: 7F14118A
	v_cvt_i32_f32_e32 v139, v139                               // 00000000BB58: 7F16118B
	v_cvt_i32_f32_e32 v140, v140                               // 00000000BB5C: 7F18118C
	v_cvt_i32_f32_e32 v141, v141                               // 00000000BB60: 7F1A118D
	v_cvt_i32_f32_e32 v142, v142                               // 00000000BB64: 7F1C118E
	v_cvt_i32_f32_e32 v143, v143                               // 00000000BB68: 7F1E118F
	v_perm_b32 v128, v129, v128, s53                           // 00000000BB6C: D1ED0080 00D70181
	v_perm_b32 v128, v130, v128, s54                           // 00000000BB74: D1ED0080 00DB0182
	v_perm_b32 v128, v131, v128, s55                           // 00000000BB7C: D1ED0080 00DF0183
	v_perm_b32 v129, v133, v132, s53                           // 00000000BB84: D1ED0081 00D70985
	v_perm_b32 v129, v134, v129, s54                           // 00000000BB8C: D1ED0081 00DB0386
	v_perm_b32 v129, v135, v129, s55                           // 00000000BB94: D1ED0081 00DF0387
	v_perm_b32 v130, v137, v136, s53                           // 00000000BB9C: D1ED0082 00D71189
	v_perm_b32 v130, v138, v130, s54                           // 00000000BBA4: D1ED0082 00DB058A
	v_perm_b32 v130, v139, v130, s55                           // 00000000BBAC: D1ED0082 00DF058B
	v_perm_b32 v131, v141, v140, s53                           // 00000000BBB4: D1ED0083 00D7198D
	v_perm_b32 v131, v142, v131, s54                           // 00000000BBBC: D1ED0083 00DB078E
	v_perm_b32 v131, v143, v131, s55                           // 00000000BBC4: D1ED0083 00DF078F
	ds_write_b32 v10, v128 offset:29184                        // 00000000BBCC: D81A7200 0000800A
	ds_write_b32 v10, v129 offset:30208                        // 00000000BBD4: D81A7600 0000810A
	ds_write_b32 v10, v130 offset:31232                        // 00000000BBDC: D81A7A00 0000820A
	ds_write_b32 v10, v131 offset:32256                        // 00000000BBE4: D81A7E00 0000830A
	v_add_f32_e32 v216, v216, v184                             // 00000000BBEC: 03B171D8
	v_add_f32_e32 v217, v217, v185                             // 00000000BBF0: 03B373D9
	v_add_f32_e32 v218, v218, v186                             // 00000000BBF4: 03B575DA
	v_add_f32_e32 v219, v219, v187                             // 00000000BBF8: 03B777DB
	v_add_f32_e32 v220, v220, v188                             // 00000000BBFC: 03B979DC
	v_add_f32_e32 v221, v221, v189                             // 00000000BC00: 03BB7BDD
	v_add_f32_e32 v222, v222, v190                             // 00000000BC04: 03BD7DDE
	v_add_f32_e32 v223, v223, v191                             // 00000000BC08: 03BF7FDF
	v_rcp_f32_e32 v45, v48                                     // 00000000BC0C: 7E5A4530
	s_waitcnt lgkmcnt(0)                                       // 00000000BC10: BF8CC07F
	s_barrier                                                  // 00000000BC14: BF8A0000
	ds_read_b64 v[128:129], v9 offset:29184                    // 00000000BC18: D8EC7200 80000009
	ds_read_b64 v[130:131], v9 offset:29312                    // 00000000BC20: D8EC7280 82000009
	ds_read_b64 v[132:133], v9 offset:30208                    // 00000000BC28: D8EC7600 84000009
	ds_read_b64 v[134:135], v9 offset:30336                    // 00000000BC30: D8EC7680 86000009
	ds_read_b64 v[136:137], v9 offset:31232                    // 00000000BC38: D8EC7A00 88000009
	ds_read_b64 v[138:139], v9 offset:31360                    // 00000000BC40: D8EC7A80 8A000009
	ds_read_b64 v[140:141], v9 offset:32256                    // 00000000BC48: D8EC7E00 8C000009
	ds_read_b64 v[142:143], v9 offset:32384                    // 00000000BC50: D8EC7E80 8E000009
	s_waitcnt vmcnt(15)                                        // 00000000BC58: BF8C0F7F
	v_mfma_i32_16x16x32_i8 v[176:179], a[96:97], v[112:113], 0 // 00000000BC5C: D3D700B0 0A02E160
	buffer_load_dwordx4 a[80:83], v30, s[20:23], 0 offen offset:1024// 00000000BC64: E05C1400 8085501E
	v_mfma_i32_16x16x32_i8 v[176:179], a[98:99], v[114:115], v[176:179]// 00000000BC6C: D3D700B0 0EC2E562
	v_mfma_i32_16x16x32_i8 v[176:179], a[100:101], v[116:117], v[176:179]// 00000000BC74: D3D700B0 0EC2E964
	v_mfma_i32_16x16x32_i8 v[176:179], a[102:103], v[118:119], v[176:179]// 00000000BC7C: D3D700B0 0EC2ED66
	v_mfma_i32_16x16x32_i8 v[176:179], a[104:105], v[120:121], v[176:179]// 00000000BC84: D3D700B0 0EC2F168
	buffer_load_dwordx4 a[84:87], v31, s[20:23], 0 offen offset:1024// 00000000BC8C: E05C1400 8085541F
	v_mfma_i32_16x16x32_i8 v[176:179], a[106:107], v[122:123], v[176:179]// 00000000BC94: D3D700B0 0EC2F56A
	v_mfma_i32_16x16x32_i8 v[176:179], a[108:109], v[124:125], v[176:179]// 00000000BC9C: D3D700B0 0EC2F96C
	v_mfma_i32_16x16x32_i8 v[176:179], a[110:111], v[126:127], v[176:179]// 00000000BCA4: D3D700B0 0EC2FD6E
	v_mfma_i32_16x16x32_i8 v[180:183], a[112:113], v[112:113], 0// 00000000BCAC: D3D700B4 0A02E170
	buffer_load_dwordx4 a[88:91], v32, s[20:23], 0 offen offset:1024// 00000000BCB4: E05C1400 80855820
	v_mfma_i32_16x16x32_i8 v[180:183], a[114:115], v[114:115], v[180:183]// 00000000BCBC: D3D700B4 0ED2E572
	v_mfma_i32_16x16x32_i8 v[180:183], a[116:117], v[116:117], v[180:183]// 00000000BCC4: D3D700B4 0ED2E974
	v_mfma_i32_16x16x32_i8 v[180:183], a[118:119], v[118:119], v[180:183]// 00000000BCCC: D3D700B4 0ED2ED76
	v_mfma_i32_16x16x32_i8 v[180:183], a[120:121], v[120:121], v[180:183]// 00000000BCD4: D3D700B4 0ED2F178
	buffer_load_dwordx4 a[92:95], v33, s[20:23], 0 offen offset:1024// 00000000BCDC: E05C1400 80855C21
	v_mfma_i32_16x16x32_i8 v[180:183], a[122:123], v[122:123], v[180:183]// 00000000BCE4: D3D700B4 0ED2F57A
	v_mfma_i32_16x16x32_i8 v[180:183], a[124:125], v[124:125], v[180:183]// 00000000BCEC: D3D700B4 0ED2F97C
	s_lshr_b32 s57, s70, 4                                     // 00000000BCF4: 8F398446
	s_add_u32 s57, 48, s57                                     // 00000000BCF8: 803939B0
	v_mfma_i32_16x16x32_i8 v[180:183], a[126:127], v[126:127], v[180:183]// 00000000BCFC: D3D700B4 0ED2FD7E
	s_cmp_ge_u32 s57, s73                                      // 00000000BD04: BF094939
	s_cselect_b32 s56, 0, s56                                  // 00000000BD08: 85383880
	v_mfma_i32_16x16x32_i8 v[184:187], a[96:97], v[128:129], 0 // 00000000BD0C: D3D700B8 0A030160
	v_mfma_i32_16x16x32_i8 v[184:187], a[98:99], v[130:131], v[184:187]// 00000000BD14: D3D700B8 0EE30562
	v_mfma_i32_16x16x32_i8 v[184:187], a[100:101], v[132:133], v[184:187]// 00000000BD1C: D3D700B8 0EE30964
	v_mfma_i32_16x16x32_i8 v[184:187], a[102:103], v[134:135], v[184:187]// 00000000BD24: D3D700B8 0EE30D66
	v_mfma_i32_16x16x32_i8 v[184:187], a[104:105], v[136:137], v[184:187]// 00000000BD2C: D3D700B8 0EE31168
	v_mfma_i32_16x16x32_i8 v[184:187], a[106:107], v[138:139], v[184:187]// 00000000BD34: D3D700B8 0EE3156A
	v_mfma_i32_16x16x32_i8 v[184:187], a[108:109], v[140:141], v[184:187]// 00000000BD3C: D3D700B8 0EE3196C
	v_mfma_i32_16x16x32_i8 v[184:187], a[110:111], v[142:143], v[184:187]// 00000000BD44: D3D700B8 0EE31D6E
	v_mfma_i32_16x16x32_i8 v[188:191], a[112:113], v[128:129], 0// 00000000BD4C: D3D700BC 0A030170
	v_mfma_i32_16x16x32_i8 v[188:191], a[114:115], v[130:131], v[188:191]// 00000000BD54: D3D700BC 0EF30572
	v_mfma_i32_16x16x32_i8 v[188:191], a[116:117], v[132:133], v[188:191]// 00000000BD5C: D3D700BC 0EF30974
	v_mfma_i32_16x16x32_i8 v[188:191], a[118:119], v[134:135], v[188:191]// 00000000BD64: D3D700BC 0EF30D76
	v_mfma_i32_16x16x32_i8 v[188:191], a[120:121], v[136:137], v[188:191]// 00000000BD6C: D3D700BC 0EF31178
	v_mfma_i32_16x16x32_i8 v[188:191], a[122:123], v[138:139], v[188:191]// 00000000BD74: D3D700BC 0EF3157A
	v_mfma_i32_16x16x32_i8 v[188:191], a[124:125], v[140:141], v[188:191]// 00000000BD7C: D3D700BC 0EF3197C
	v_mfma_i32_16x16x32_i8 v[188:191], a[126:127], v[142:143], v[188:191]// 00000000BD84: D3D700BC 0EF31D7E
	v_add_u32_e32 v1, s56, v1                                  // 00000000BD8C: 68020238
	s_addk_i32 s70, 0x100                                      // 00000000BD90: B7460100
	s_cmp_lt_i32 s70, s71                                      // 00000000BD94: BF044746
	s_cbranch_scc0 label_1DA8                                  // 00000000BD98: BF84F6C1
	s_branch label_1DAB                                        // 00000000BD9C: BF82F6C3

000000000000bda0 <label_26E8>:
	s_lshr_b32 s60, s71, 4                                     // 00000000BDA0: 8F3C8447
	s_cmp_eq_i32 s60, s73                                      // 00000000BDA4: BF00493C
	s_cbranch_scc1 label_3163                                  // 00000000BDA8: BF850A78
	s_lshr_b32 s60, s71, 8                                     // 00000000BDAC: 8F3C8847
	s_and_b32 s60, s60, 1                                      // 00000000BDB0: 863C813C
	s_cmp_eq_i32 s60, 1                                        // 00000000BDB4: BF00813C
	s_cbranch_scc1 label_2C29                                  // 00000000BDB8: BF85053A
	s_waitcnt vmcnt(8) lgkmcnt(0)                              // 00000000BDBC: BF8C0078
	s_barrier                                                  // 00000000BDC0: BF8A0000
	v_mfma_i32_16x16x32_i8 v[112:115], a[0:1], v[80:81], 0     // 00000000BDC4: D3D70070 0A02A100
	v_mfma_i32_16x16x32_i8 v[112:115], a[2:3], v[82:83], v[112:115]// 00000000BDCC: D3D70070 0DC2A502
	v_mfma_i32_16x16x32_i8 v[112:115], a[4:5], v[84:85], v[112:115]// 00000000BDD4: D3D70070 0DC2A904
	v_mfma_i32_16x16x32_i8 v[112:115], a[6:7], v[86:87], v[112:115]// 00000000BDDC: D3D70070 0DC2AD06
	v_mfma_i32_16x16x32_i8 v[116:119], a[8:9], v[80:81], 0     // 00000000BDE4: D3D70074 0A02A108
	v_mfma_i32_16x16x32_i8 v[116:119], a[10:11], v[82:83], v[116:119]// 00000000BDEC: D3D70074 0DD2A50A
	v_mfma_i32_16x16x32_i8 v[116:119], a[12:13], v[84:85], v[116:119]// 00000000BDF4: D3D70074 0DD2A90C
	v_mfma_i32_16x16x32_i8 v[116:119], a[14:15], v[86:87], v[116:119]// 00000000BDFC: D3D70074 0DD2AD0E
	v_mfma_i32_16x16x32_i8 v[120:123], a[16:17], v[80:81], 0   // 00000000BE04: D3D70078 0A02A110
	v_mfma_i32_16x16x32_i8 v[120:123], a[18:19], v[82:83], v[120:123]// 00000000BE0C: D3D70078 0DE2A512
	v_mfma_i32_16x16x32_i8 v[120:123], a[20:21], v[84:85], v[120:123]// 00000000BE14: D3D70078 0DE2A914
	v_mfma_i32_16x16x32_i8 v[120:123], a[22:23], v[86:87], v[120:123]// 00000000BE1C: D3D70078 0DE2AD16
	v_mfma_i32_16x16x32_i8 v[124:127], a[24:25], v[80:81], 0   // 00000000BE24: D3D7007C 0A02A118
	v_mfma_i32_16x16x32_i8 v[124:127], a[26:27], v[82:83], v[124:127]// 00000000BE2C: D3D7007C 0DF2A51A
	v_mfma_i32_16x16x32_i8 v[124:127], a[28:29], v[84:85], v[124:127]// 00000000BE34: D3D7007C 0DF2A91C
	v_mfma_i32_16x16x32_i8 v[124:127], a[30:31], v[86:87], v[124:127]// 00000000BE3C: D3D7007C 0DF2AD1E
	v_mfma_i32_16x16x32_i8 v[128:131], a[0:1], v[88:89], 0     // 00000000BE44: D3D70080 0A02B100
	v_mfma_i32_16x16x32_i8 v[128:131], a[2:3], v[90:91], v[128:131]// 00000000BE4C: D3D70080 0E02B502
	v_mfma_i32_16x16x32_i8 v[128:131], a[4:5], v[92:93], v[128:131]// 00000000BE54: D3D70080 0E02B904
	v_mfma_i32_16x16x32_i8 v[128:131], a[6:7], v[94:95], v[128:131]// 00000000BE5C: D3D70080 0E02BD06
	v_mfma_i32_16x16x32_i8 v[132:135], a[8:9], v[88:89], 0     // 00000000BE64: D3D70084 0A02B108
	v_mfma_i32_16x16x32_i8 v[132:135], a[10:11], v[90:91], v[132:135]// 00000000BE6C: D3D70084 0E12B50A
	v_mfma_i32_16x16x32_i8 v[132:135], a[12:13], v[92:93], v[132:135]// 00000000BE74: D3D70084 0E12B90C
	v_mfma_i32_16x16x32_i8 v[132:135], a[14:15], v[94:95], v[132:135]// 00000000BE7C: D3D70084 0E12BD0E
	v_mfma_i32_16x16x32_i8 v[136:139], a[16:17], v[88:89], 0   // 00000000BE84: D3D70088 0A02B110
	v_mfma_i32_16x16x32_i8 v[136:139], a[18:19], v[90:91], v[136:139]// 00000000BE8C: D3D70088 0E22B512
	v_mfma_i32_16x16x32_i8 v[136:139], a[20:21], v[92:93], v[136:139]// 00000000BE94: D3D70088 0E22B914
	v_mfma_i32_16x16x32_i8 v[136:139], a[22:23], v[94:95], v[136:139]// 00000000BE9C: D3D70088 0E22BD16
	v_mfma_i32_16x16x32_i8 v[140:143], a[24:25], v[88:89], 0   // 00000000BEA4: D3D7008C 0A02B118
	v_mfma_i32_16x16x32_i8 v[140:143], a[26:27], v[90:91], v[140:143]// 00000000BEAC: D3D7008C 0E32B51A
	v_mfma_i32_16x16x32_i8 v[140:143], a[28:29], v[92:93], v[140:143]// 00000000BEB4: D3D7008C 0E32B91C
	v_mfma_i32_16x16x32_i8 v[140:143], a[30:31], v[94:95], v[140:143]// 00000000BEBC: D3D7008C 0E32BD1E
	v_mov_b32_dpp v64, v42 row_shr:4 row_mask:0xf bank_mask:0xf// 00000000BEC4: 7E8002FA FF01142A
	v_mov_b32_dpp v65, v42 row_shl:4 row_mask:0xf bank_mask:0xf// 00000000BECC: 7E8202FA FF01042A
	v_cndmask_b32_e64 v248, v42, v64, s[44:45]                 // 00000000BED4: D10000F8 00B2812A
	v_cndmask_b32_e64 v249, v65, v42, s[44:45]                 // 00000000BEDC: D10000F9 00B25541
	v_mov_b32_dpp v64, v248 row_shr:8 row_mask:0xf bank_mask:0xf// 00000000BEE4: 7E8002FA FF0118F8
	v_mov_b32_dpp v65, v248 row_shl:8 row_mask:0xf bank_mask:0xf// 00000000BEEC: 7E8202FA FF0108F8
	v_mov_b32_dpp v66, v249 row_shr:8 row_mask:0xf bank_mask:0xf// 00000000BEF4: 7E8402FA FF0118F9
	v_mov_b32_dpp v67, v249 row_shl:8 row_mask:0xf bank_mask:0xf// 00000000BEFC: 7E8602FA FF0108F9
	v_mov_b32_e32 v68, v248                                    // 00000000BF04: 7E8803F8
	v_mov_b32_e32 v69, v249                                    // 00000000BF08: 7E8A03F9
	v_cndmask_b32_e64 v248, v68, v64, s[42:43]                 // 00000000BF0C: D10000F8 00AA8144
	v_cndmask_b32_e64 v250, v68, v65, s[78:79]                 // 00000000BF14: D10000FA 013A8344
	v_cndmask_b32_e64 v249, v69, v66, s[42:43]                 // 00000000BF1C: D10000F9 00AA8545
	v_cndmask_b32_e64 v251, v69, v67, s[78:79]                 // 00000000BF24: D10000FB 013A8745
	v_mov_b32_dpp v64, v57 row_shr:4 row_mask:0xf bank_mask:0xf// 00000000BF2C: 7E8002FA FF011439
	v_mov_b32_dpp v65, v57 row_shl:4 row_mask:0xf bank_mask:0xf// 00000000BF34: 7E8202FA FF010439
	v_cndmask_b32_e64 v252, v57, v64, s[44:45]                 // 00000000BF3C: D10000FC 00B28139
	v_cndmask_b32_e64 v253, v65, v57, s[44:45]                 // 00000000BF44: D10000FD 00B27341
	v_mov_b32_dpp v64, v252 row_shr:8 row_mask:0xf bank_mask:0xf// 00000000BF4C: 7E8002FA FF0118FC
	v_mov_b32_dpp v65, v252 row_shl:8 row_mask:0xf bank_mask:0xf// 00000000BF54: 7E8202FA FF0108FC
	v_mov_b32_dpp v66, v253 row_shr:8 row_mask:0xf bank_mask:0xf// 00000000BF5C: 7E8402FA FF0118FD
	v_mov_b32_dpp v67, v253 row_shl:8 row_mask:0xf bank_mask:0xf// 00000000BF64: 7E8602FA FF0108FD
	v_mov_b32_e32 v68, v252                                    // 00000000BF6C: 7E8803FC
	v_mov_b32_e32 v69, v253                                    // 00000000BF70: 7E8A03FD
	v_cndmask_b32_e64 v252, v68, v64, s[42:43]                 // 00000000BF74: D10000FC 00AA8144
	v_cndmask_b32_e64 v254, v68, v65, s[78:79]                 // 00000000BF7C: D10000FE 013A8344
	v_cndmask_b32_e64 v253, v69, v66, s[42:43]                 // 00000000BF84: D10000FD 00AA8545
	v_cndmask_b32_e64 v255, v69, v67, s[78:79]                 // 00000000BF8C: D10000FF 013A8745
	v_cvt_f32_i32_e32 v112, v112                               // 00000000BF94: 7EE00B70
	v_cvt_f32_i32_e32 v113, v113                               // 00000000BF98: 7EE20B71
	v_cvt_f32_i32_e32 v114, v114                               // 00000000BF9C: 7EE40B72
	v_cvt_f32_i32_e32 v115, v115                               // 00000000BFA0: 7EE60B73
	v_cvt_f32_i32_e32 v116, v116                               // 00000000BFA4: 7EE80B74
	v_cvt_f32_i32_e32 v117, v117                               // 00000000BFA8: 7EEA0B75
	v_cvt_f32_i32_e32 v118, v118                               // 00000000BFAC: 7EEC0B76
	v_cvt_f32_i32_e32 v119, v119                               // 00000000BFB0: 7EEE0B77
	v_cvt_f32_i32_e32 v120, v120                               // 00000000BFB4: 7EF00B78
	v_cvt_f32_i32_e32 v121, v121                               // 00000000BFB8: 7EF20B79
	v_cvt_f32_i32_e32 v122, v122                               // 00000000BFBC: 7EF40B7A
	v_cvt_f32_i32_e32 v123, v123                               // 00000000BFC0: 7EF60B7B
	v_cvt_f32_i32_e32 v124, v124                               // 00000000BFC4: 7EF80B7C
	v_cvt_f32_i32_e32 v125, v125                               // 00000000BFC8: 7EFA0B7D
	v_cvt_f32_i32_e32 v126, v126                               // 00000000BFCC: 7EFC0B7E
	v_cvt_f32_i32_e32 v127, v127                               // 00000000BFD0: 7EFE0B7F
	v_mul_f32_e32 v112, v18, v112                              // 00000000BFD4: 0AE0E112
	v_mul_f32_e32 v113, v18, v113                              // 00000000BFD8: 0AE2E312
	v_mul_f32_e32 v114, v18, v114                              // 00000000BFDC: 0AE4E512
	v_mul_f32_e32 v115, v18, v115                              // 00000000BFE0: 0AE6E712
	v_mul_f32_e32 v116, v18, v116                              // 00000000BFE4: 0AE8E912
	v_mul_f32_e32 v117, v18, v117                              // 00000000BFE8: 0AEAEB12
	v_mul_f32_e32 v118, v18, v118                              // 00000000BFEC: 0AECED12
	v_mul_f32_e32 v119, v18, v119                              // 00000000BFF0: 0AEEEF12
	v_mul_f32_e32 v120, v18, v120                              // 00000000BFF4: 0AF0F112
	v_mul_f32_e32 v121, v18, v121                              // 00000000BFF8: 0AF2F312
	v_mul_f32_e32 v122, v18, v122                              // 00000000BFFC: 0AF4F512
	v_mul_f32_e32 v123, v18, v123                              // 00000000C000: 0AF6F712
	v_mul_f32_e32 v124, v18, v124                              // 00000000C004: 0AF8F912
	v_mul_f32_e32 v125, v18, v125                              // 00000000C008: 0AFAFB12
	v_mul_f32_e32 v126, v18, v126                              // 00000000C00C: 0AFCFD12
	v_mul_f32_e32 v127, v18, v127                              // 00000000C010: 0AFEFF12
	v_mul_f32_dpp v112, v248, v112 quad_perm:[0,0,0,0] row_mask:0xf bank_mask:0xf// 00000000C014: 0AE0E0FA FF0000F8
	v_mul_f32_dpp v113, v248, v113 quad_perm:[1,1,1,1] row_mask:0xf bank_mask:0xf// 00000000C01C: 0AE2E2FA FF0055F8
	v_mul_f32_dpp v114, v248, v114 quad_perm:[2,2,2,2] row_mask:0xf bank_mask:0xf// 00000000C024: 0AE4E4FA FF00AAF8
	v_mul_f32_dpp v115, v248, v115 quad_perm:[3,3,3,3] row_mask:0xf bank_mask:0xf// 00000000C02C: 0AE6E6FA FF00FFF8
	v_mul_f32_dpp v116, v249, v116 quad_perm:[0,0,0,0] row_mask:0xf bank_mask:0xf// 00000000C034: 0AE8E8FA FF0000F9
	v_mul_f32_dpp v117, v249, v117 quad_perm:[1,1,1,1] row_mask:0xf bank_mask:0xf// 00000000C03C: 0AEAEAFA FF0055F9
	v_mul_f32_dpp v118, v249, v118 quad_perm:[2,2,2,2] row_mask:0xf bank_mask:0xf// 00000000C044: 0AECECFA FF00AAF9
	v_mul_f32_dpp v119, v249, v119 quad_perm:[3,3,3,3] row_mask:0xf bank_mask:0xf// 00000000C04C: 0AEEEEFA FF00FFF9
	v_mul_f32_dpp v120, v250, v120 quad_perm:[0,0,0,0] row_mask:0xf bank_mask:0xf// 00000000C054: 0AF0F0FA FF0000FA
	v_mul_f32_dpp v121, v250, v121 quad_perm:[1,1,1,1] row_mask:0xf bank_mask:0xf// 00000000C05C: 0AF2F2FA FF0055FA
	v_mul_f32_dpp v122, v250, v122 quad_perm:[2,2,2,2] row_mask:0xf bank_mask:0xf// 00000000C064: 0AF4F4FA FF00AAFA
	v_mul_f32_dpp v123, v250, v123 quad_perm:[3,3,3,3] row_mask:0xf bank_mask:0xf// 00000000C06C: 0AF6F6FA FF00FFFA
	v_mul_f32_dpp v124, v251, v124 quad_perm:[0,0,0,0] row_mask:0xf bank_mask:0xf// 00000000C074: 0AF8F8FA FF0000FB
	v_mul_f32_dpp v125, v251, v125 quad_perm:[1,1,1,1] row_mask:0xf bank_mask:0xf// 00000000C07C: 0AFAFAFA FF0055FB
	v_mul_f32_dpp v126, v251, v126 quad_perm:[2,2,2,2] row_mask:0xf bank_mask:0xf// 00000000C084: 0AFCFCFA FF00AAFB
	v_mul_f32_dpp v127, v251, v127 quad_perm:[3,3,3,3] row_mask:0xf bank_mask:0xf// 00000000C08C: 0AFEFEFA FF00FFFB
	s_and_b32 s60, s72, 0xff                                   // 00000000C094: 863CFF48 000000FF
	v_mov_b32_e32 v65, s60                                     // 00000000C09C: 7E82023C
	v_lshrrev_b32_e32 v240, 4, v0                              // 00000000C0A0: 21E00084
	v_mul_i32_i24_e32 v240, 4, v240                            // 00000000C0A4: 0DE1E084
	s_mul_i32 s60, s7, 16                                      // 00000000C0A8: 923C9007
	v_add_u32_e32 v240, s60, v240                              // 00000000C0AC: 69E1E03C
	v_add_u32_e32 v241, 1, v240                                // 00000000C0B0: 69E3E081
	v_add_u32_e32 v242, 2, v240                                // 00000000C0B4: 69E5E082
	v_add_u32_e32 v243, 3, v240                                // 00000000C0B8: 69E7E083
	v_mov_b32_e32 v64, 0xff800000                              // 00000000C0BC: 7E8002FF FF800000
	v_cmp_lt_u32_e64 s[40:41], v240, v65                       // 00000000C0C4: D0C90028 000283F0
	v_add_u32_e32 v240, 64, v240                               // 00000000C0CC: 69E1E0C0
	s_nop 0                                                    // 00000000C0D0: BF800000
	v_cndmask_b32_e64 v112, v64, v112, s[40:41]                // 00000000C0D4: D1000070 00A2E140
	v_cmp_lt_u32_e64 s[40:41], v241, v65                       // 00000000C0DC: D0C90028 000283F1
	v_add_u32_e32 v241, 64, v241                               // 00000000C0E4: 69E3E2C0
	s_nop 0                                                    // 00000000C0E8: BF800000
	v_cndmask_b32_e64 v113, v64, v113, s[40:41]                // 00000000C0EC: D1000071 00A2E340
	v_cmp_lt_u32_e64 s[40:41], v242, v65                       // 00000000C0F4: D0C90028 000283F2
	v_add_u32_e32 v242, 64, v242                               // 00000000C0FC: 69E5E4C0
	s_nop 0                                                    // 00000000C100: BF800000
	v_cndmask_b32_e64 v114, v64, v114, s[40:41]                // 00000000C104: D1000072 00A2E540
	v_cmp_lt_u32_e64 s[40:41], v243, v65                       // 00000000C10C: D0C90028 000283F3
	v_add_u32_e32 v243, 64, v243                               // 00000000C114: 69E7E6C0
	s_nop 0                                                    // 00000000C118: BF800000
	v_cndmask_b32_e64 v115, v64, v115, s[40:41]                // 00000000C11C: D1000073 00A2E740
	v_cmp_lt_u32_e64 s[40:41], v240, v65                       // 00000000C124: D0C90028 000283F0
	v_add_u32_e32 v240, 64, v240                               // 00000000C12C: 69E1E0C0
	s_nop 0                                                    // 00000000C130: BF800000
	v_cndmask_b32_e64 v116, v64, v116, s[40:41]                // 00000000C134: D1000074 00A2E940
	v_cmp_lt_u32_e64 s[40:41], v241, v65                       // 00000000C13C: D0C90028 000283F1
	v_add_u32_e32 v241, 64, v241                               // 00000000C144: 69E3E2C0
	s_nop 0                                                    // 00000000C148: BF800000
	v_cndmask_b32_e64 v117, v64, v117, s[40:41]                // 00000000C14C: D1000075 00A2EB40
	v_cmp_lt_u32_e64 s[40:41], v242, v65                       // 00000000C154: D0C90028 000283F2
	v_add_u32_e32 v242, 64, v242                               // 00000000C15C: 69E5E4C0
	s_nop 0                                                    // 00000000C160: BF800000
	v_cndmask_b32_e64 v118, v64, v118, s[40:41]                // 00000000C164: D1000076 00A2ED40
	v_cmp_lt_u32_e64 s[40:41], v243, v65                       // 00000000C16C: D0C90028 000283F3
	v_add_u32_e32 v243, 64, v243                               // 00000000C174: 69E7E6C0
	s_nop 0                                                    // 00000000C178: BF800000
	v_cndmask_b32_e64 v119, v64, v119, s[40:41]                // 00000000C17C: D1000077 00A2EF40
	v_cmp_lt_u32_e64 s[40:41], v240, v65                       // 00000000C184: D0C90028 000283F0
	v_add_u32_e32 v240, 64, v240                               // 00000000C18C: 69E1E0C0
	s_nop 0                                                    // 00000000C190: BF800000
	v_cndmask_b32_e64 v120, v64, v120, s[40:41]                // 00000000C194: D1000078 00A2F140
	v_cmp_lt_u32_e64 s[40:41], v241, v65                       // 00000000C19C: D0C90028 000283F1
	v_add_u32_e32 v241, 64, v241                               // 00000000C1A4: 69E3E2C0
	s_nop 0                                                    // 00000000C1A8: BF800000
	v_cndmask_b32_e64 v121, v64, v121, s[40:41]                // 00000000C1AC: D1000079 00A2F340
	v_cmp_lt_u32_e64 s[40:41], v242, v65                       // 00000000C1B4: D0C90028 000283F2
	v_add_u32_e32 v242, 64, v242                               // 00000000C1BC: 69E5E4C0
	s_nop 0                                                    // 00000000C1C0: BF800000
	v_cndmask_b32_e64 v122, v64, v122, s[40:41]                // 00000000C1C4: D100007A 00A2F540
	v_cmp_lt_u32_e64 s[40:41], v243, v65                       // 00000000C1CC: D0C90028 000283F3
	v_add_u32_e32 v243, 64, v243                               // 00000000C1D4: 69E7E6C0
	s_nop 0                                                    // 00000000C1D8: BF800000
	v_cndmask_b32_e64 v123, v64, v123, s[40:41]                // 00000000C1DC: D100007B 00A2F740
	v_cmp_lt_u32_e64 s[40:41], v240, v65                       // 00000000C1E4: D0C90028 000283F0
	v_add_u32_e32 v240, 64, v240                               // 00000000C1EC: 69E1E0C0
	s_nop 0                                                    // 00000000C1F0: BF800000
	v_cndmask_b32_e64 v124, v64, v124, s[40:41]                // 00000000C1F4: D100007C 00A2F940
	v_cmp_lt_u32_e64 s[40:41], v241, v65                       // 00000000C1FC: D0C90028 000283F1
	v_add_u32_e32 v241, 64, v241                               // 00000000C204: 69E3E2C0
	s_nop 0                                                    // 00000000C208: BF800000
	v_cndmask_b32_e64 v125, v64, v125, s[40:41]                // 00000000C20C: D100007D 00A2FB40
	v_cmp_lt_u32_e64 s[40:41], v242, v65                       // 00000000C214: D0C90028 000283F2
	v_add_u32_e32 v242, 64, v242                               // 00000000C21C: 69E5E4C0
	s_nop 0                                                    // 00000000C220: BF800000
	v_cndmask_b32_e64 v126, v64, v126, s[40:41]                // 00000000C224: D100007E 00A2FD40
	v_cmp_lt_u32_e64 s[40:41], v243, v65                       // 00000000C22C: D0C90028 000283F3
	v_add_u32_e32 v243, 64, v243                               // 00000000C234: 69E7E6C0
	s_nop 0                                                    // 00000000C238: BF800000
	v_cndmask_b32_e64 v127, v64, v127, s[40:41]                // 00000000C23C: D100007F 00A2FF40
	v_mov_b32_e32 v48, v112                                    // 00000000C244: 7E600370
	v_max3_f32 v48, v112, v113, v48                            // 00000000C248: D1D30030 04C2E370
	v_max3_f32 v48, v114, v115, v48                            // 00000000C250: D1D30030 04C2E772
	v_max3_f32 v48, v116, v117, v48                            // 00000000C258: D1D30030 04C2EB74
	v_max3_f32 v48, v118, v119, v48                            // 00000000C260: D1D30030 04C2EF76
	v_max3_f32 v48, v120, v121, v48                            // 00000000C268: D1D30030 04C2F378
	v_max3_f32 v48, v122, v123, v48                            // 00000000C270: D1D30030 04C2F77A
	v_max3_f32 v48, v124, v125, v48                            // 00000000C278: D1D30030 04C2FB7C
	v_max3_f32 v48, v126, v127, v48                            // 00000000C280: D1D30030 04C2FF7E
	ds_write_b32 v8, v48 offset:16896                          // 00000000C288: D81A4200 00003008
	v_mul_u32_u24_dpp v64, v17, v54 row_newbcast:1 row_mask:0xf bank_mask:0xf// 00000000C290: 10806CFA FF015111
	v_mul_u32_u24_dpp v65, v17, v54 row_newbcast:5 row_mask:0xf bank_mask:0xf// 00000000C298: 10826CFA FF015511
	v_mul_u32_u24_dpp v66, v17, v54 row_newbcast:9 row_mask:0xf bank_mask:0xf// 00000000C2A0: 10846CFA FF015911
	v_mul_u32_u24_dpp v67, v17, v54 row_newbcast:13 row_mask:0xf bank_mask:0xf// 00000000C2A8: 10866CFA FF015D11
	v_add_u32_e32 v34, v64, v6                                 // 00000000C2B0: 68440D40
	v_add_u32_e32 v35, v65, v6                                 // 00000000C2B4: 68460D41
	v_add_u32_e32 v36, v66, v6                                 // 00000000C2B8: 68480D42
	v_add_u32_e32 v37, v67, v6                                 // 00000000C2BC: 684A0D43
	v_mul_f32_e32 v208, v49, v208                              // 00000000C2C0: 0BA1A131
	v_mul_f32_e32 v209, v49, v209                              // 00000000C2C4: 0BA3A331
	v_mul_f32_e32 v210, v49, v210                              // 00000000C2C8: 0BA5A531
	v_mul_f32_e32 v211, v49, v211                              // 00000000C2CC: 0BA7A731
	v_mul_f32_e32 v212, v49, v212                              // 00000000C2D0: 0BA9A931
	v_mul_f32_e32 v213, v49, v213                              // 00000000C2D4: 0BABAB31
	v_mul_f32_e32 v214, v49, v214                              // 00000000C2D8: 0BADAD31
	v_mul_f32_e32 v215, v49, v215                              // 00000000C2DC: 0BAFAF31
	s_waitcnt lgkmcnt(0)                                       // 00000000C2E0: BF8CC07F
	s_barrier                                                  // 00000000C2E4: BF8A0000
	ds_read_b32 v64, v7 offset:16896                           // 00000000C2E8: D86C4200 40000007
	ds_read_b32 v65, v7 offset:16960                           // 00000000C2F0: D86C4240 41000007
	ds_read_b32 v66, v7 offset:17024                           // 00000000C2F8: D86C4280 42000007
	ds_read_b32 v67, v7 offset:17088                           // 00000000C300: D86C42C0 43000007
	ds_read_b32 v68, v7 offset:17152                           // 00000000C308: D86C4300 44000007
	ds_read_b32 v69, v7 offset:17216                           // 00000000C310: D86C4340 45000007
	ds_read_b32 v70, v7 offset:17280                           // 00000000C318: D86C4380 46000007
	ds_read_b32 v71, v7 offset:17344                           // 00000000C320: D86C43C0 47000007
	ds_read_b32 v72, v7 offset:17408                           // 00000000C328: D86C4400 48000007
	ds_read_b32 v73, v7 offset:17472                           // 00000000C330: D86C4440 49000007
	ds_read_b32 v74, v7 offset:17536                           // 00000000C338: D86C4480 4A000007
	ds_read_b32 v75, v7 offset:17600                           // 00000000C340: D86C44C0 4B000007
	ds_read_b32 v76, v7 offset:17664                           // 00000000C348: D86C4500 4C000007
	ds_read_b32 v77, v7 offset:17728                           // 00000000C350: D86C4540 4D000007
	ds_read_b32 v78, v7 offset:17792                           // 00000000C358: D86C4580 4E000007
	ds_read_b32 v79, v7 offset:17856                           // 00000000C360: D86C45C0 4F000007
	v_cvt_f32_i32_e32 v176, v176                               // 00000000C368: 7F600BB0
	v_cvt_f32_i32_e32 v177, v177                               // 00000000C36C: 7F620BB1
	v_cvt_f32_i32_e32 v178, v178                               // 00000000C370: 7F640BB2
	v_cvt_f32_i32_e32 v179, v179                               // 00000000C374: 7F660BB3
	v_cvt_f32_i32_e32 v180, v180                               // 00000000C378: 7F680BB4
	v_cvt_f32_i32_e32 v181, v181                               // 00000000C37C: 7F6A0BB5
	v_cvt_f32_i32_e32 v182, v182                               // 00000000C380: 7F6C0BB6
	v_cvt_f32_i32_e32 v183, v183                               // 00000000C384: 7F6E0BB7
	v_mul_f32_e32 v176, v44, v176                              // 00000000C388: 0B61612C
	v_mul_f32_e32 v177, v44, v177                              // 00000000C38C: 0B63632C
	v_mul_f32_e32 v178, v44, v178                              // 00000000C390: 0B65652C
	v_mul_f32_e32 v179, v44, v179                              // 00000000C394: 0B67672C
	v_mul_f32_e32 v180, v44, v180                              // 00000000C398: 0B69692C
	v_mul_f32_e32 v181, v44, v181                              // 00000000C39C: 0B6B6B2C
	v_mul_f32_e32 v182, v44, v182                              // 00000000C3A0: 0B6D6D2C
	v_mul_f32_e32 v183, v44, v183                              // 00000000C3A4: 0B6F6F2C
	s_waitcnt lgkmcnt(0)                                       // 00000000C3A8: BF8CC07F
	v_max3_f32 v48, v64, v65, v48                              // 00000000C3AC: D1D30030 04C28340
	v_max3_f32 v48, v66, v67, v48                              // 00000000C3B4: D1D30030 04C28742
	v_max3_f32 v48, v68, v69, v48                              // 00000000C3BC: D1D30030 04C28B44
	v_max3_f32 v48, v70, v71, v48                              // 00000000C3C4: D1D30030 04C28F46
	v_max3_f32 v48, v72, v73, v48                              // 00000000C3CC: D1D30030 04C29348
	v_max3_f32 v48, v74, v75, v48                              // 00000000C3D4: D1D30030 04C2974A
	v_max3_f32 v48, v76, v77, v48                              // 00000000C3DC: D1D30030 04C29B4C
	v_max3_f32 v48, v78, v79, v48                              // 00000000C3E4: D1D30030 04C29F4E
	v_mov_b32_e32 v64, 0xff800000                              // 00000000C3EC: 7E8002FF FF800000
	v_cmp_eq_u32_e64 s[40:41], v64, v11                        // 00000000C3F4: D0CA0028 00021740
	s_nop 1                                                    // 00000000C3FC: BF800001
	v_max_f32_e32 v15, v48, v11                                // 00000000C400: 161E1730
	v_mul_f32_e32 v53, s64, v15                                // 00000000C404: 0A6A1E40
	v_fma_f32 v112, v112, s64, -v53                            // 00000000C408: D1CB0070 84D48170
	v_fma_f32 v113, v113, s64, -v53                            // 00000000C410: D1CB0071 84D48171
	v_fma_f32 v114, v114, s64, -v53                            // 00000000C418: D1CB0072 84D48172
	v_fma_f32 v115, v115, s64, -v53                            // 00000000C420: D1CB0073 84D48173
	v_fma_f32 v116, v116, s64, -v53                            // 00000000C428: D1CB0074 84D48174
	v_fma_f32 v117, v117, s64, -v53                            // 00000000C430: D1CB0075 84D48175
	v_fma_f32 v118, v118, s64, -v53                            // 00000000C438: D1CB0076 84D48176
	v_fma_f32 v119, v119, s64, -v53                            // 00000000C440: D1CB0077 84D48177
	v_fma_f32 v120, v120, s64, -v53                            // 00000000C448: D1CB0078 84D48178
	v_fma_f32 v121, v121, s64, -v53                            // 00000000C450: D1CB0079 84D48179
	v_fma_f32 v122, v122, s64, -v53                            // 00000000C458: D1CB007A 84D4817A
	v_fma_f32 v123, v123, s64, -v53                            // 00000000C460: D1CB007B 84D4817B
	v_fma_f32 v124, v124, s64, -v53                            // 00000000C468: D1CB007C 84D4817C
	v_fma_f32 v125, v125, s64, -v53                            // 00000000C470: D1CB007D 84D4817D
	v_fma_f32 v126, v126, s64, -v53                            // 00000000C478: D1CB007E 84D4817E
	v_fma_f32 v127, v127, s64, -v53                            // 00000000C480: D1CB007F 84D4817F
	v_exp_f32_e32 v112, v112                                   // 00000000C488: 7EE04170
	v_exp_f32_e32 v113, v113                                   // 00000000C48C: 7EE24171
	v_exp_f32_e32 v114, v114                                   // 00000000C490: 7EE44172
	v_exp_f32_e32 v115, v115                                   // 00000000C494: 7EE64173
	v_exp_f32_e32 v116, v116                                   // 00000000C498: 7EE84174
	v_exp_f32_e32 v117, v117                                   // 00000000C49C: 7EEA4175
	v_exp_f32_e32 v118, v118                                   // 00000000C4A0: 7EEC4176
	v_exp_f32_e32 v119, v119                                   // 00000000C4A4: 7EEE4177
	v_exp_f32_e32 v120, v120                                   // 00000000C4A8: 7EF04178
	v_exp_f32_e32 v121, v121                                   // 00000000C4AC: 7EF24179
	v_exp_f32_e32 v122, v122                                   // 00000000C4B0: 7EF4417A
	v_exp_f32_e32 v123, v123                                   // 00000000C4B4: 7EF6417B
	v_exp_f32_e32 v124, v124                                   // 00000000C4B8: 7EF8417C
	v_exp_f32_e32 v125, v125                                   // 00000000C4BC: 7EFA417D
	v_exp_f32_e32 v126, v126                                   // 00000000C4C0: 7EFC417E
	v_exp_f32_e32 v127, v127                                   // 00000000C4C4: 7EFE417F
	v_mul_f32_dpp v240, v252, v112 quad_perm:[0,0,0,0] row_mask:0xf bank_mask:0xf// 00000000C4C8: 0BE0E0FA FF0000FC
	v_mul_f32_dpp v241, v252, v113 quad_perm:[1,1,1,1] row_mask:0xf bank_mask:0xf// 00000000C4D0: 0BE2E2FA FF0055FC
	v_mul_f32_dpp v242, v252, v114 quad_perm:[2,2,2,2] row_mask:0xf bank_mask:0xf// 00000000C4D8: 0BE4E4FA FF00AAFC
	v_mul_f32_dpp v243, v252, v115 quad_perm:[3,3,3,3] row_mask:0xf bank_mask:0xf// 00000000C4E0: 0BE6E6FA FF00FFFC
	v_mul_f32_dpp v244, v253, v116 quad_perm:[0,0,0,0] row_mask:0xf bank_mask:0xf// 00000000C4E8: 0BE8E8FA FF0000FD
	v_mul_f32_dpp v245, v253, v117 quad_perm:[1,1,1,1] row_mask:0xf bank_mask:0xf// 00000000C4F0: 0BEAEAFA FF0055FD
	v_mul_f32_dpp v246, v253, v118 quad_perm:[2,2,2,2] row_mask:0xf bank_mask:0xf// 00000000C4F8: 0BECECFA FF00AAFD
	v_mul_f32_dpp v247, v253, v119 quad_perm:[3,3,3,3] row_mask:0xf bank_mask:0xf// 00000000C500: 0BEEEEFA FF00FFFD
	v_mul_f32_dpp v248, v254, v120 quad_perm:[0,0,0,0] row_mask:0xf bank_mask:0xf// 00000000C508: 0BF0F0FA FF0000FE
	v_mul_f32_dpp v249, v254, v121 quad_perm:[1,1,1,1] row_mask:0xf bank_mask:0xf// 00000000C510: 0BF2F2FA FF0055FE
	v_mul_f32_dpp v250, v254, v122 quad_perm:[2,2,2,2] row_mask:0xf bank_mask:0xf// 00000000C518: 0BF4F4FA FF00AAFE
	v_mul_f32_dpp v251, v254, v123 quad_perm:[3,3,3,3] row_mask:0xf bank_mask:0xf// 00000000C520: 0BF6F6FA FF00FFFE
	v_mul_f32_dpp v252, v255, v124 quad_perm:[0,0,0,0] row_mask:0xf bank_mask:0xf// 00000000C528: 0BF8F8FA FF0000FF
	v_mul_f32_dpp v253, v255, v125 quad_perm:[1,1,1,1] row_mask:0xf bank_mask:0xf// 00000000C530: 0BFAFAFA FF0055FF
	v_mul_f32_dpp v254, v255, v126 quad_perm:[2,2,2,2] row_mask:0xf bank_mask:0xf// 00000000C538: 0BFCFCFA FF00AAFF
	v_mul_f32_dpp v255, v255, v127 quad_perm:[3,3,3,3] row_mask:0xf bank_mask:0xf// 00000000C540: 0BFEFEFA FF00FFFF
	v_mov_b32_e32 v48, 0x358637bd                              // 00000000C548: 7E6002FF 358637BD
	v_max3_f32 v48, |v240|, |v241|, v48                        // 00000000C550: D1D30330 04C3E3F0
	v_max3_f32 v48, |v242|, |v243|, v48                        // 00000000C558: D1D30330 04C3E7F2
	v_max3_f32 v48, |v244|, |v245|, v48                        // 00000000C560: D1D30330 04C3EBF4
	v_max3_f32 v48, |v246|, |v247|, v48                        // 00000000C568: D1D30330 04C3EFF6
	v_max3_f32 v48, |v248|, |v249|, v48                        // 00000000C570: D1D30330 04C3F3F8
	v_max3_f32 v48, |v250|, |v251|, v48                        // 00000000C578: D1D30330 04C3F7FA
	v_max3_f32 v48, |v252|, |v253|, v48                        // 00000000C580: D1D30330 04C3FBFC
	v_max3_f32 v48, |v254|, |v255|, v48                        // 00000000C588: D1D30330 04C3FFFE
	ds_write_b32 v8, v48 offset:20992                          // 00000000C590: D81A5200 00003008
	v_sub_f32_e32 v49, v11, v15                                // 00000000C598: 04621F0B
	v_cndmask_b32_e64 v49, v49, 0, s[40:41]                    // 00000000C59C: D1000031 00A10131
	v_mov_b32_e32 v11, v15                                     // 00000000C5A4: 7E16030F
	v_mul_f32_e32 v49, s64, v49                                // 00000000C5A8: 0A626240
	v_exp_f32_e32 v49, v49                                     // 00000000C5AC: 7E624131
	s_waitcnt lgkmcnt(0)                                       // 00000000C5B0: BF8CC07F
	s_barrier                                                  // 00000000C5B4: BF8A0000
	ds_read_b32 v64, v7 offset:20992                           // 00000000C5B8: D86C5200 40000007
	ds_read_b32 v65, v7 offset:21056                           // 00000000C5C0: D86C5240 41000007
	ds_read_b32 v66, v7 offset:21120                           // 00000000C5C8: D86C5280 42000007
	ds_read_b32 v67, v7 offset:21184                           // 00000000C5D0: D86C52C0 43000007
	ds_read_b32 v68, v7 offset:21248                           // 00000000C5D8: D86C5300 44000007
	ds_read_b32 v69, v7 offset:21312                           // 00000000C5E0: D86C5340 45000007
	ds_read_b32 v70, v7 offset:21376                           // 00000000C5E8: D86C5380 46000007
	ds_read_b32 v71, v7 offset:21440                           // 00000000C5F0: D86C53C0 47000007
	ds_read_b32 v72, v7 offset:21504                           // 00000000C5F8: D86C5400 48000007
	ds_read_b32 v73, v7 offset:21568                           // 00000000C600: D86C5440 49000007
	ds_read_b32 v74, v7 offset:21632                           // 00000000C608: D86C5480 4A000007
	ds_read_b32 v75, v7 offset:21696                           // 00000000C610: D86C54C0 4B000007
	ds_read_b32 v76, v7 offset:21760                           // 00000000C618: D86C5500 4C000007
	ds_read_b32 v77, v7 offset:21824                           // 00000000C620: D86C5540 4D000007
	ds_read_b32 v78, v7 offset:21888                           // 00000000C628: D86C5580 4E000007
	ds_read_b32 v79, v7 offset:21952                           // 00000000C630: D86C55C0 4F000007
	v_mul_f32_e32 v38, v49, v38                                // 00000000C638: 0A4C4D31
	v_mov_b32_e32 v15, v112                                    // 00000000C63C: 7E1E0370
	v_add_f32_e32 v15, v113, v15                               // 00000000C640: 021E1F71
	v_add_f32_e32 v15, v114, v15                               // 00000000C644: 021E1F72
	v_add_f32_e32 v15, v115, v15                               // 00000000C648: 021E1F73
	v_add_f32_e32 v15, v116, v15                               // 00000000C64C: 021E1F74
	v_add_f32_e32 v15, v117, v15                               // 00000000C650: 021E1F75
	v_add_f32_e32 v15, v118, v15                               // 00000000C654: 021E1F76
	v_add_f32_e32 v15, v119, v15                               // 00000000C658: 021E1F77
	v_add_f32_e32 v15, v120, v15                               // 00000000C65C: 021E1F78
	v_add_f32_e32 v15, v121, v15                               // 00000000C660: 021E1F79
	v_add_f32_e32 v15, v122, v15                               // 00000000C664: 021E1F7A
	v_add_f32_e32 v15, v123, v15                               // 00000000C668: 021E1F7B
	v_add_f32_e32 v15, v124, v15                               // 00000000C66C: 021E1F7C
	v_add_f32_e32 v15, v125, v15                               // 00000000C670: 021E1F7D
	v_add_f32_e32 v15, v126, v15                               // 00000000C674: 021E1F7E
	v_add_f32_e32 v15, v127, v15                               // 00000000C678: 021E1F7F
	v_add_f32_e32 v38, v15, v38                                // 00000000C67C: 024C4D0F
	s_waitcnt lgkmcnt(0)                                       // 00000000C680: BF8CC07F
	v_max3_f32 v48, |v64|, |v65|, v48                          // 00000000C684: D1D30330 04C28340
	v_max3_f32 v48, |v66|, |v67|, v48                          // 00000000C68C: D1D30330 04C28742
	v_max3_f32 v48, |v68|, |v69|, v48                          // 00000000C694: D1D30330 04C28B44
	v_max3_f32 v48, |v70|, |v71|, v48                          // 00000000C69C: D1D30330 04C28F46
	v_max3_f32 v48, |v72|, |v73|, v48                          // 00000000C6A4: D1D30330 04C29348
	v_max3_f32 v48, |v74|, |v75|, v48                          // 00000000C6AC: D1D30330 04C2974A
	v_max3_f32 v48, |v76|, |v77|, v48                          // 00000000C6B4: D1D30330 04C29B4C
	v_max3_f32 v48, |v78|, |v79|, v48                          // 00000000C6BC: D1D30330 04C29F4E
	s_nop 2                                                    // 00000000C6C4: BF800002
	v_rcp_f32_e32 v48, v48                                     // 00000000C6C8: 7E604530
	s_nop 1                                                    // 00000000C6CC: BF800001
	v_mul_f32_e32 v48, 0x42fe0000, v48                         // 00000000C6D0: 0A6060FF 42FE0000
	v_mul_f32_e32 v112, v48, v240                              // 00000000C6D8: 0AE1E130
	v_mul_f32_e32 v113, v48, v241                              // 00000000C6DC: 0AE3E330
	v_mul_f32_e32 v114, v48, v242                              // 00000000C6E0: 0AE5E530
	v_mul_f32_e32 v115, v48, v243                              // 00000000C6E4: 0AE7E730
	v_mul_f32_e32 v116, v48, v244                              // 00000000C6E8: 0AE9E930
	v_mul_f32_e32 v117, v48, v245                              // 00000000C6EC: 0AEBEB30
	v_mul_f32_e32 v118, v48, v246                              // 00000000C6F0: 0AEDED30
	v_mul_f32_e32 v119, v48, v247                              // 00000000C6F4: 0AEFEF30
	v_mul_f32_e32 v120, v48, v248                              // 00000000C6F8: 0AF1F130
	v_mul_f32_e32 v121, v48, v249                              // 00000000C6FC: 0AF3F330
	v_mul_f32_e32 v122, v48, v250                              // 00000000C700: 0AF5F530
	v_mul_f32_e32 v123, v48, v251                              // 00000000C704: 0AF7F730
	v_mul_f32_e32 v124, v48, v252                              // 00000000C708: 0AF9F930
	v_mul_f32_e32 v125, v48, v253                              // 00000000C70C: 0AFBFB30
	v_mul_f32_e32 v126, v48, v254                              // 00000000C710: 0AFDFD30
	v_mul_f32_e32 v127, v48, v255                              // 00000000C714: 0AFFFF30
	v_cvt_i32_f32_e32 v112, v112                               // 00000000C718: 7EE01170
	v_cvt_i32_f32_e32 v113, v113                               // 00000000C71C: 7EE21171
	v_cvt_i32_f32_e32 v114, v114                               // 00000000C720: 7EE41172
	v_cvt_i32_f32_e32 v115, v115                               // 00000000C724: 7EE61173
	v_cvt_i32_f32_e32 v116, v116                               // 00000000C728: 7EE81174
	v_cvt_i32_f32_e32 v117, v117                               // 00000000C72C: 7EEA1175
	v_cvt_i32_f32_e32 v118, v118                               // 00000000C730: 7EEC1176
	v_cvt_i32_f32_e32 v119, v119                               // 00000000C734: 7EEE1177
	v_cvt_i32_f32_e32 v120, v120                               // 00000000C738: 7EF01178
	v_cvt_i32_f32_e32 v121, v121                               // 00000000C73C: 7EF21179
	v_cvt_i32_f32_e32 v122, v122                               // 00000000C740: 7EF4117A
	v_cvt_i32_f32_e32 v123, v123                               // 00000000C744: 7EF6117B
	v_cvt_i32_f32_e32 v124, v124                               // 00000000C748: 7EF8117C
	v_cvt_i32_f32_e32 v125, v125                               // 00000000C74C: 7EFA117D
	v_cvt_i32_f32_e32 v126, v126                               // 00000000C750: 7EFC117E
	v_cvt_i32_f32_e32 v127, v127                               // 00000000C754: 7EFE117F
	v_perm_b32 v112, v113, v112, s53                           // 00000000C758: D1ED0070 00D6E171
	v_perm_b32 v112, v114, v112, s54                           // 00000000C760: D1ED0070 00DAE172
	v_perm_b32 v112, v115, v112, s55                           // 00000000C768: D1ED0070 00DEE173
	v_perm_b32 v113, v117, v116, s53                           // 00000000C770: D1ED0071 00D6E975
	v_perm_b32 v113, v118, v113, s54                           // 00000000C778: D1ED0071 00DAE376
	v_perm_b32 v113, v119, v113, s55                           // 00000000C780: D1ED0071 00DEE377
	v_perm_b32 v114, v121, v120, s53                           // 00000000C788: D1ED0072 00D6F179
	v_perm_b32 v114, v122, v114, s54                           // 00000000C790: D1ED0072 00DAE57A
	v_perm_b32 v114, v123, v114, s55                           // 00000000C798: D1ED0072 00DEE57B
	v_perm_b32 v115, v125, v124, s53                           // 00000000C7A0: D1ED0073 00D6F97D
	v_perm_b32 v115, v126, v115, s54                           // 00000000C7A8: D1ED0073 00DAE77E
	v_perm_b32 v115, v127, v115, s55                           // 00000000C7B0: D1ED0073 00DEE77F
	ds_write_b32 v10, v112 offset:25088                        // 00000000C7B8: D81A6200 0000700A
	ds_write_b32 v10, v113 offset:26112                        // 00000000C7C0: D81A6600 0000710A
	ds_write_b32 v10, v114 offset:27136                        // 00000000C7C8: D81A6A00 0000720A
	ds_write_b32 v10, v115 offset:28160                        // 00000000C7D0: D81A6E00 0000730A
	v_add_f32_e32 v208, v208, v176                             // 00000000C7D8: 03A161D0
	v_add_f32_e32 v209, v209, v177                             // 00000000C7DC: 03A363D1
	v_add_f32_e32 v210, v210, v178                             // 00000000C7E0: 03A565D2
	v_add_f32_e32 v211, v211, v179                             // 00000000C7E4: 03A767D3
	v_add_f32_e32 v212, v212, v180                             // 00000000C7E8: 03A969D4
	v_add_f32_e32 v213, v213, v181                             // 00000000C7EC: 03AB6BD5
	v_add_f32_e32 v214, v214, v182                             // 00000000C7F0: 03AD6DD6
	v_add_f32_e32 v215, v215, v183                             // 00000000C7F4: 03AF6FD7
	v_rcp_f32_e32 v44, v48                                     // 00000000C7F8: 7E584530
	s_waitcnt lgkmcnt(0)                                       // 00000000C7FC: BF8CC07F
	s_barrier                                                  // 00000000C800: BF8A0000
	ds_read_b64 v[112:113], v9 offset:25088                    // 00000000C804: D8EC6200 70000009
	ds_read_b64 v[114:115], v9 offset:25216                    // 00000000C80C: D8EC6280 72000009
	ds_read_b64 v[116:117], v9 offset:26112                    // 00000000C814: D8EC6600 74000009
	ds_read_b64 v[118:119], v9 offset:26240                    // 00000000C81C: D8EC6680 76000009
	ds_read_b64 v[120:121], v9 offset:27136                    // 00000000C824: D8EC6A00 78000009
	ds_read_b64 v[122:123], v9 offset:27264                    // 00000000C82C: D8EC6A80 7A000009
	ds_read_b64 v[124:125], v9 offset:28160                    // 00000000C834: D8EC6E00 7C000009
	ds_read_b64 v[126:127], v9 offset:28288                    // 00000000C83C: D8EC6E80 7E000009
	v_mov_b32_dpp v64, v42 row_shr:4 row_mask:0xf bank_mask:0xf// 00000000C844: 7E8002FA FF01142A
	v_mov_b32_dpp v65, v42 row_shl:4 row_mask:0xf bank_mask:0xf// 00000000C84C: 7E8202FA FF01042A
	v_cndmask_b32_e64 v248, v42, v64, s[44:45]                 // 00000000C854: D10000F8 00B2812A
	v_cndmask_b32_e64 v249, v65, v42, s[44:45]                 // 00000000C85C: D10000F9 00B25541
	v_mov_b32_dpp v64, v248 row_shr:8 row_mask:0xf bank_mask:0xf// 00000000C864: 7E8002FA FF0118F8
	v_mov_b32_dpp v65, v248 row_shl:8 row_mask:0xf bank_mask:0xf// 00000000C86C: 7E8202FA FF0108F8
	v_mov_b32_dpp v66, v249 row_shr:8 row_mask:0xf bank_mask:0xf// 00000000C874: 7E8402FA FF0118F9
	v_mov_b32_dpp v67, v249 row_shl:8 row_mask:0xf bank_mask:0xf// 00000000C87C: 7E8602FA FF0108F9
	v_mov_b32_e32 v68, v248                                    // 00000000C884: 7E8803F8
	v_mov_b32_e32 v69, v249                                    // 00000000C888: 7E8A03F9
	v_cndmask_b32_e64 v248, v68, v64, s[42:43]                 // 00000000C88C: D10000F8 00AA8144
	v_cndmask_b32_e64 v250, v68, v65, s[78:79]                 // 00000000C894: D10000FA 013A8344
	v_cndmask_b32_e64 v249, v69, v66, s[42:43]                 // 00000000C89C: D10000F9 00AA8545
	v_cndmask_b32_e64 v251, v69, v67, s[78:79]                 // 00000000C8A4: D10000FB 013A8745
	v_mov_b32_dpp v64, v57 row_shr:4 row_mask:0xf bank_mask:0xf// 00000000C8AC: 7E8002FA FF011439
	v_mov_b32_dpp v65, v57 row_shl:4 row_mask:0xf bank_mask:0xf// 00000000C8B4: 7E8202FA FF010439
	v_cndmask_b32_e64 v252, v57, v64, s[44:45]                 // 00000000C8BC: D10000FC 00B28139
	v_cndmask_b32_e64 v253, v65, v57, s[44:45]                 // 00000000C8C4: D10000FD 00B27341
	v_mov_b32_dpp v64, v252 row_shr:8 row_mask:0xf bank_mask:0xf// 00000000C8CC: 7E8002FA FF0118FC
	v_mov_b32_dpp v65, v252 row_shl:8 row_mask:0xf bank_mask:0xf// 00000000C8D4: 7E8202FA FF0108FC
	v_mov_b32_dpp v66, v253 row_shr:8 row_mask:0xf bank_mask:0xf// 00000000C8DC: 7E8402FA FF0118FD
	v_mov_b32_dpp v67, v253 row_shl:8 row_mask:0xf bank_mask:0xf// 00000000C8E4: 7E8602FA FF0108FD
	v_mov_b32_e32 v68, v252                                    // 00000000C8EC: 7E8803FC
	v_mov_b32_e32 v69, v253                                    // 00000000C8F0: 7E8A03FD
	v_cndmask_b32_e64 v252, v68, v64, s[42:43]                 // 00000000C8F4: D10000FC 00AA8144
	v_cndmask_b32_e64 v254, v68, v65, s[78:79]                 // 00000000C8FC: D10000FE 013A8344
	v_cndmask_b32_e64 v253, v69, v66, s[42:43]                 // 00000000C904: D10000FD 00AA8545
	v_cndmask_b32_e64 v255, v69, v67, s[78:79]                 // 00000000C90C: D10000FF 013A8745
	v_cvt_f32_i32_e32 v128, v128                               // 00000000C914: 7F000B80
	v_cvt_f32_i32_e32 v129, v129                               // 00000000C918: 7F020B81
	v_cvt_f32_i32_e32 v130, v130                               // 00000000C91C: 7F040B82
	v_cvt_f32_i32_e32 v131, v131                               // 00000000C920: 7F060B83
	v_cvt_f32_i32_e32 v132, v132                               // 00000000C924: 7F080B84
	v_cvt_f32_i32_e32 v133, v133                               // 00000000C928: 7F0A0B85
	v_cvt_f32_i32_e32 v134, v134                               // 00000000C92C: 7F0C0B86
	v_cvt_f32_i32_e32 v135, v135                               // 00000000C930: 7F0E0B87
	v_cvt_f32_i32_e32 v136, v136                               // 00000000C934: 7F100B88
	v_cvt_f32_i32_e32 v137, v137                               // 00000000C938: 7F120B89
	v_cvt_f32_i32_e32 v138, v138                               // 00000000C93C: 7F140B8A
	v_cvt_f32_i32_e32 v139, v139                               // 00000000C940: 7F160B8B
	v_cvt_f32_i32_e32 v140, v140                               // 00000000C944: 7F180B8C
	v_cvt_f32_i32_e32 v141, v141                               // 00000000C948: 7F1A0B8D
	v_cvt_f32_i32_e32 v142, v142                               // 00000000C94C: 7F1C0B8E
	v_cvt_f32_i32_e32 v143, v143                               // 00000000C950: 7F1E0B8F
	v_mul_f32_e32 v128, v19, v128                              // 00000000C954: 0B010113
	v_mul_f32_e32 v129, v19, v129                              // 00000000C958: 0B030313
	v_mul_f32_e32 v130, v19, v130                              // 00000000C95C: 0B050513
	v_mul_f32_e32 v131, v19, v131                              // 00000000C960: 0B070713
	v_mul_f32_e32 v132, v19, v132                              // 00000000C964: 0B090913
	v_mul_f32_e32 v133, v19, v133                              // 00000000C968: 0B0B0B13
	v_mul_f32_e32 v134, v19, v134                              // 00000000C96C: 0B0D0D13
	v_mul_f32_e32 v135, v19, v135                              // 00000000C970: 0B0F0F13
	v_mul_f32_e32 v136, v19, v136                              // 00000000C974: 0B111113
	v_mul_f32_e32 v137, v19, v137                              // 00000000C978: 0B131313
	v_mul_f32_e32 v138, v19, v138                              // 00000000C97C: 0B151513
	v_mul_f32_e32 v139, v19, v139                              // 00000000C980: 0B171713
	v_mul_f32_e32 v140, v19, v140                              // 00000000C984: 0B191913
	v_mul_f32_e32 v141, v19, v141                              // 00000000C988: 0B1B1B13
	v_mul_f32_e32 v142, v19, v142                              // 00000000C98C: 0B1D1D13
	v_mul_f32_e32 v143, v19, v143                              // 00000000C990: 0B1F1F13
	v_mul_f32_dpp v128, v248, v128 quad_perm:[0,0,0,0] row_mask:0xf bank_mask:0xf// 00000000C994: 0B0100FA FF0000F8
	v_mul_f32_dpp v129, v248, v129 quad_perm:[1,1,1,1] row_mask:0xf bank_mask:0xf// 00000000C99C: 0B0302FA FF0055F8
	v_mul_f32_dpp v130, v248, v130 quad_perm:[2,2,2,2] row_mask:0xf bank_mask:0xf// 00000000C9A4: 0B0504FA FF00AAF8
	v_mul_f32_dpp v131, v248, v131 quad_perm:[3,3,3,3] row_mask:0xf bank_mask:0xf// 00000000C9AC: 0B0706FA FF00FFF8
	v_mul_f32_dpp v132, v249, v132 quad_perm:[0,0,0,0] row_mask:0xf bank_mask:0xf// 00000000C9B4: 0B0908FA FF0000F9
	v_mul_f32_dpp v133, v249, v133 quad_perm:[1,1,1,1] row_mask:0xf bank_mask:0xf// 00000000C9BC: 0B0B0AFA FF0055F9
	v_mul_f32_dpp v134, v249, v134 quad_perm:[2,2,2,2] row_mask:0xf bank_mask:0xf// 00000000C9C4: 0B0D0CFA FF00AAF9
	v_mul_f32_dpp v135, v249, v135 quad_perm:[3,3,3,3] row_mask:0xf bank_mask:0xf// 00000000C9CC: 0B0F0EFA FF00FFF9
	v_mul_f32_dpp v136, v250, v136 quad_perm:[0,0,0,0] row_mask:0xf bank_mask:0xf// 00000000C9D4: 0B1110FA FF0000FA
	v_mul_f32_dpp v137, v250, v137 quad_perm:[1,1,1,1] row_mask:0xf bank_mask:0xf// 00000000C9DC: 0B1312FA FF0055FA
	v_mul_f32_dpp v138, v250, v138 quad_perm:[2,2,2,2] row_mask:0xf bank_mask:0xf// 00000000C9E4: 0B1514FA FF00AAFA
	v_mul_f32_dpp v139, v250, v139 quad_perm:[3,3,3,3] row_mask:0xf bank_mask:0xf// 00000000C9EC: 0B1716FA FF00FFFA
	v_mul_f32_dpp v140, v251, v140 quad_perm:[0,0,0,0] row_mask:0xf bank_mask:0xf// 00000000C9F4: 0B1918FA FF0000FB
	v_mul_f32_dpp v141, v251, v141 quad_perm:[1,1,1,1] row_mask:0xf bank_mask:0xf// 00000000C9FC: 0B1B1AFA FF0055FB
	v_mul_f32_dpp v142, v251, v142 quad_perm:[2,2,2,2] row_mask:0xf bank_mask:0xf// 00000000CA04: 0B1D1CFA FF00AAFB
	v_mul_f32_dpp v143, v251, v143 quad_perm:[3,3,3,3] row_mask:0xf bank_mask:0xf// 00000000CA0C: 0B1F1EFA FF00FFFB
	s_and_b32 s60, s72, 0xff                                   // 00000000CA14: 863CFF48 000000FF
	v_mov_b32_e32 v65, s60                                     // 00000000CA1C: 7E82023C
	v_lshrrev_b32_e32 v240, 4, v0                              // 00000000CA20: 21E00084
	v_mul_i32_i24_e32 v240, 4, v240                            // 00000000CA24: 0DE1E084
	s_mul_i32 s60, s7, 16                                      // 00000000CA28: 923C9007
	v_add_u32_e32 v240, s60, v240                              // 00000000CA2C: 69E1E03C
	v_add_u32_e32 v241, 1, v240                                // 00000000CA30: 69E3E081
	v_add_u32_e32 v242, 2, v240                                // 00000000CA34: 69E5E082
	v_add_u32_e32 v243, 3, v240                                // 00000000CA38: 69E7E083
	v_mov_b32_e32 v64, 0xff800000                              // 00000000CA3C: 7E8002FF FF800000
	v_cmp_lt_u32_e64 s[40:41], v240, v65                       // 00000000CA44: D0C90028 000283F0
	v_add_u32_e32 v240, 64, v240                               // 00000000CA4C: 69E1E0C0
	s_nop 0                                                    // 00000000CA50: BF800000
	v_cndmask_b32_e64 v128, v64, v128, s[40:41]                // 00000000CA54: D1000080 00A30140
	v_cmp_lt_u32_e64 s[40:41], v241, v65                       // 00000000CA5C: D0C90028 000283F1
	v_add_u32_e32 v241, 64, v241                               // 00000000CA64: 69E3E2C0
	s_nop 0                                                    // 00000000CA68: BF800000
	v_cndmask_b32_e64 v129, v64, v129, s[40:41]                // 00000000CA6C: D1000081 00A30340
	v_cmp_lt_u32_e64 s[40:41], v242, v65                       // 00000000CA74: D0C90028 000283F2
	v_add_u32_e32 v242, 64, v242                               // 00000000CA7C: 69E5E4C0
	s_nop 0                                                    // 00000000CA80: BF800000
	v_cndmask_b32_e64 v130, v64, v130, s[40:41]                // 00000000CA84: D1000082 00A30540
	v_cmp_lt_u32_e64 s[40:41], v243, v65                       // 00000000CA8C: D0C90028 000283F3
	v_add_u32_e32 v243, 64, v243                               // 00000000CA94: 69E7E6C0
	s_nop 0                                                    // 00000000CA98: BF800000
	v_cndmask_b32_e64 v131, v64, v131, s[40:41]                // 00000000CA9C: D1000083 00A30740
	v_cmp_lt_u32_e64 s[40:41], v240, v65                       // 00000000CAA4: D0C90028 000283F0
	v_add_u32_e32 v240, 64, v240                               // 00000000CAAC: 69E1E0C0
	s_nop 0                                                    // 00000000CAB0: BF800000
	v_cndmask_b32_e64 v132, v64, v132, s[40:41]                // 00000000CAB4: D1000084 00A30940
	v_cmp_lt_u32_e64 s[40:41], v241, v65                       // 00000000CABC: D0C90028 000283F1
	v_add_u32_e32 v241, 64, v241                               // 00000000CAC4: 69E3E2C0
	s_nop 0                                                    // 00000000CAC8: BF800000
	v_cndmask_b32_e64 v133, v64, v133, s[40:41]                // 00000000CACC: D1000085 00A30B40
	v_cmp_lt_u32_e64 s[40:41], v242, v65                       // 00000000CAD4: D0C90028 000283F2
	v_add_u32_e32 v242, 64, v242                               // 00000000CADC: 69E5E4C0
	s_nop 0                                                    // 00000000CAE0: BF800000
	v_cndmask_b32_e64 v134, v64, v134, s[40:41]                // 00000000CAE4: D1000086 00A30D40
	v_cmp_lt_u32_e64 s[40:41], v243, v65                       // 00000000CAEC: D0C90028 000283F3
	v_add_u32_e32 v243, 64, v243                               // 00000000CAF4: 69E7E6C0
	s_nop 0                                                    // 00000000CAF8: BF800000
	v_cndmask_b32_e64 v135, v64, v135, s[40:41]                // 00000000CAFC: D1000087 00A30F40
	v_cmp_lt_u32_e64 s[40:41], v240, v65                       // 00000000CB04: D0C90028 000283F0
	v_add_u32_e32 v240, 64, v240                               // 00000000CB0C: 69E1E0C0
	s_nop 0                                                    // 00000000CB10: BF800000
	v_cndmask_b32_e64 v136, v64, v136, s[40:41]                // 00000000CB14: D1000088 00A31140
	v_cmp_lt_u32_e64 s[40:41], v241, v65                       // 00000000CB1C: D0C90028 000283F1
	v_add_u32_e32 v241, 64, v241                               // 00000000CB24: 69E3E2C0
	s_nop 0                                                    // 00000000CB28: BF800000
	v_cndmask_b32_e64 v137, v64, v137, s[40:41]                // 00000000CB2C: D1000089 00A31340
	v_cmp_lt_u32_e64 s[40:41], v242, v65                       // 00000000CB34: D0C90028 000283F2
	v_add_u32_e32 v242, 64, v242                               // 00000000CB3C: 69E5E4C0
	s_nop 0                                                    // 00000000CB40: BF800000
	v_cndmask_b32_e64 v138, v64, v138, s[40:41]                // 00000000CB44: D100008A 00A31540
	v_cmp_lt_u32_e64 s[40:41], v243, v65                       // 00000000CB4C: D0C90028 000283F3
	v_add_u32_e32 v243, 64, v243                               // 00000000CB54: 69E7E6C0
	s_nop 0                                                    // 00000000CB58: BF800000
	v_cndmask_b32_e64 v139, v64, v139, s[40:41]                // 00000000CB5C: D100008B 00A31740
	v_cmp_lt_u32_e64 s[40:41], v240, v65                       // 00000000CB64: D0C90028 000283F0
	v_add_u32_e32 v240, 64, v240                               // 00000000CB6C: 69E1E0C0
	s_nop 0                                                    // 00000000CB70: BF800000
	v_cndmask_b32_e64 v140, v64, v140, s[40:41]                // 00000000CB74: D100008C 00A31940
	v_cmp_lt_u32_e64 s[40:41], v241, v65                       // 00000000CB7C: D0C90028 000283F1
	v_add_u32_e32 v241, 64, v241                               // 00000000CB84: 69E3E2C0
	s_nop 0                                                    // 00000000CB88: BF800000
	v_cndmask_b32_e64 v141, v64, v141, s[40:41]                // 00000000CB8C: D100008D 00A31B40
	v_cmp_lt_u32_e64 s[40:41], v242, v65                       // 00000000CB94: D0C90028 000283F2
	v_add_u32_e32 v242, 64, v242                               // 00000000CB9C: 69E5E4C0
	s_nop 0                                                    // 00000000CBA0: BF800000
	v_cndmask_b32_e64 v142, v64, v142, s[40:41]                // 00000000CBA4: D100008E 00A31D40
	v_cmp_lt_u32_e64 s[40:41], v243, v65                       // 00000000CBAC: D0C90028 000283F3
	v_add_u32_e32 v243, 64, v243                               // 00000000CBB4: 69E7E6C0
	s_nop 0                                                    // 00000000CBB8: BF800000
	v_cndmask_b32_e64 v143, v64, v143, s[40:41]                // 00000000CBBC: D100008F 00A31F40
	v_mov_b32_e32 v48, v128                                    // 00000000CBC4: 7E600380
	v_max3_f32 v48, v128, v129, v48                            // 00000000CBC8: D1D30030 04C30380
	v_max3_f32 v48, v130, v131, v48                            // 00000000CBD0: D1D30030 04C30782
	v_max3_f32 v48, v132, v133, v48                            // 00000000CBD8: D1D30030 04C30B84
	v_max3_f32 v48, v134, v135, v48                            // 00000000CBE0: D1D30030 04C30F86
	v_max3_f32 v48, v136, v137, v48                            // 00000000CBE8: D1D30030 04C31388
	v_max3_f32 v48, v138, v139, v48                            // 00000000CBF0: D1D30030 04C3178A
	v_max3_f32 v48, v140, v141, v48                            // 00000000CBF8: D1D30030 04C31B8C
	v_max3_f32 v48, v142, v143, v48                            // 00000000CC00: D1D30030 04C31F8E
	ds_write_b32 v8, v48 offset:16896                          // 00000000CC08: D81A4200 00003008
	v_mul_f32_e32 v216, v50, v216                              // 00000000CC10: 0BB1B132
	v_mul_f32_e32 v217, v50, v217                              // 00000000CC14: 0BB3B332
	v_mul_f32_e32 v218, v50, v218                              // 00000000CC18: 0BB5B532
	v_mul_f32_e32 v219, v50, v219                              // 00000000CC1C: 0BB7B732
	v_mul_f32_e32 v220, v50, v220                              // 00000000CC20: 0BB9B932
	v_mul_f32_e32 v221, v50, v221                              // 00000000CC24: 0BBBBB32
	v_mul_f32_e32 v222, v50, v222                              // 00000000CC28: 0BBDBD32
	v_mul_f32_e32 v223, v50, v223                              // 00000000CC2C: 0BBFBF32
	s_waitcnt lgkmcnt(0)                                       // 00000000CC30: BF8CC07F
	s_barrier                                                  // 00000000CC34: BF8A0000
	ds_read_b32 v64, v7 offset:16896                           // 00000000CC38: D86C4200 40000007
	ds_read_b32 v65, v7 offset:16960                           // 00000000CC40: D86C4240 41000007
	ds_read_b32 v66, v7 offset:17024                           // 00000000CC48: D86C4280 42000007
	ds_read_b32 v67, v7 offset:17088                           // 00000000CC50: D86C42C0 43000007
	ds_read_b32 v68, v7 offset:17152                           // 00000000CC58: D86C4300 44000007
	ds_read_b32 v69, v7 offset:17216                           // 00000000CC60: D86C4340 45000007
	ds_read_b32 v70, v7 offset:17280                           // 00000000CC68: D86C4380 46000007
	ds_read_b32 v71, v7 offset:17344                           // 00000000CC70: D86C43C0 47000007
	ds_read_b32 v72, v7 offset:17408                           // 00000000CC78: D86C4400 48000007
	ds_read_b32 v73, v7 offset:17472                           // 00000000CC80: D86C4440 49000007
	ds_read_b32 v74, v7 offset:17536                           // 00000000CC88: D86C4480 4A000007
	ds_read_b32 v75, v7 offset:17600                           // 00000000CC90: D86C44C0 4B000007
	ds_read_b32 v76, v7 offset:17664                           // 00000000CC98: D86C4500 4C000007
	ds_read_b32 v77, v7 offset:17728                           // 00000000CCA0: D86C4540 4D000007
	ds_read_b32 v78, v7 offset:17792                           // 00000000CCA8: D86C4580 4E000007
	ds_read_b32 v79, v7 offset:17856                           // 00000000CCB0: D86C45C0 4F000007
	v_cvt_f32_i32_e32 v184, v184                               // 00000000CCB8: 7F700BB8
	v_cvt_f32_i32_e32 v185, v185                               // 00000000CCBC: 7F720BB9
	v_cvt_f32_i32_e32 v186, v186                               // 00000000CCC0: 7F740BBA
	v_cvt_f32_i32_e32 v187, v187                               // 00000000CCC4: 7F760BBB
	v_cvt_f32_i32_e32 v188, v188                               // 00000000CCC8: 7F780BBC
	v_cvt_f32_i32_e32 v189, v189                               // 00000000CCCC: 7F7A0BBD
	v_cvt_f32_i32_e32 v190, v190                               // 00000000CCD0: 7F7C0BBE
	v_cvt_f32_i32_e32 v191, v191                               // 00000000CCD4: 7F7E0BBF
	v_mul_f32_e32 v184, v45, v184                              // 00000000CCD8: 0B71712D
	v_mul_f32_e32 v185, v45, v185                              // 00000000CCDC: 0B73732D
	v_mul_f32_e32 v186, v45, v186                              // 00000000CCE0: 0B75752D
	v_mul_f32_e32 v187, v45, v187                              // 00000000CCE4: 0B77772D
	v_mul_f32_e32 v188, v45, v188                              // 00000000CCE8: 0B79792D
	v_mul_f32_e32 v189, v45, v189                              // 00000000CCEC: 0B7B7B2D
	v_mul_f32_e32 v190, v45, v190                              // 00000000CCF0: 0B7D7D2D
	v_mul_f32_e32 v191, v45, v191                              // 00000000CCF4: 0B7F7F2D
	s_waitcnt lgkmcnt(0)                                       // 00000000CCF8: BF8CC07F
	v_max3_f32 v48, v64, v65, v48                              // 00000000CCFC: D1D30030 04C28340
	v_max3_f32 v48, v66, v67, v48                              // 00000000CD04: D1D30030 04C28742
	v_max3_f32 v48, v68, v69, v48                              // 00000000CD0C: D1D30030 04C28B44
	v_max3_f32 v48, v70, v71, v48                              // 00000000CD14: D1D30030 04C28F46
	v_max3_f32 v48, v72, v73, v48                              // 00000000CD1C: D1D30030 04C29348
	v_max3_f32 v48, v74, v75, v48                              // 00000000CD24: D1D30030 04C2974A
	v_max3_f32 v48, v76, v77, v48                              // 00000000CD2C: D1D30030 04C29B4C
	v_max3_f32 v48, v78, v79, v48                              // 00000000CD34: D1D30030 04C29F4E
	v_mov_b32_e32 v64, 0xff800000                              // 00000000CD3C: 7E8002FF FF800000
	v_cmp_eq_u32_e64 s[40:41], v64, v12                        // 00000000CD44: D0CA0028 00021940
	s_nop 1                                                    // 00000000CD4C: BF800001
	v_max_f32_e32 v15, v48, v12                                // 00000000CD50: 161E1930
	v_mul_f32_e32 v53, s64, v15                                // 00000000CD54: 0A6A1E40
	v_fma_f32 v128, v128, s64, -v53                            // 00000000CD58: D1CB0080 84D48180
	v_fma_f32 v129, v129, s64, -v53                            // 00000000CD60: D1CB0081 84D48181
	v_fma_f32 v130, v130, s64, -v53                            // 00000000CD68: D1CB0082 84D48182
	v_fma_f32 v131, v131, s64, -v53                            // 00000000CD70: D1CB0083 84D48183
	v_fma_f32 v132, v132, s64, -v53                            // 00000000CD78: D1CB0084 84D48184
	v_fma_f32 v133, v133, s64, -v53                            // 00000000CD80: D1CB0085 84D48185
	v_fma_f32 v134, v134, s64, -v53                            // 00000000CD88: D1CB0086 84D48186
	v_fma_f32 v135, v135, s64, -v53                            // 00000000CD90: D1CB0087 84D48187
	v_fma_f32 v136, v136, s64, -v53                            // 00000000CD98: D1CB0088 84D48188
	v_fma_f32 v137, v137, s64, -v53                            // 00000000CDA0: D1CB0089 84D48189
	v_fma_f32 v138, v138, s64, -v53                            // 00000000CDA8: D1CB008A 84D4818A
	v_fma_f32 v139, v139, s64, -v53                            // 00000000CDB0: D1CB008B 84D4818B
	v_fma_f32 v140, v140, s64, -v53                            // 00000000CDB8: D1CB008C 84D4818C
	v_fma_f32 v141, v141, s64, -v53                            // 00000000CDC0: D1CB008D 84D4818D
	v_fma_f32 v142, v142, s64, -v53                            // 00000000CDC8: D1CB008E 84D4818E
	v_fma_f32 v143, v143, s64, -v53                            // 00000000CDD0: D1CB008F 84D4818F
	v_exp_f32_e32 v128, v128                                   // 00000000CDD8: 7F004180
	v_exp_f32_e32 v129, v129                                   // 00000000CDDC: 7F024181
	v_exp_f32_e32 v130, v130                                   // 00000000CDE0: 7F044182
	v_exp_f32_e32 v131, v131                                   // 00000000CDE4: 7F064183
	v_exp_f32_e32 v132, v132                                   // 00000000CDE8: 7F084184
	v_exp_f32_e32 v133, v133                                   // 00000000CDEC: 7F0A4185
	v_exp_f32_e32 v134, v134                                   // 00000000CDF0: 7F0C4186
	v_exp_f32_e32 v135, v135                                   // 00000000CDF4: 7F0E4187
	v_exp_f32_e32 v136, v136                                   // 00000000CDF8: 7F104188
	v_exp_f32_e32 v137, v137                                   // 00000000CDFC: 7F124189
	v_exp_f32_e32 v138, v138                                   // 00000000CE00: 7F14418A
	v_exp_f32_e32 v139, v139                                   // 00000000CE04: 7F16418B
	v_exp_f32_e32 v140, v140                                   // 00000000CE08: 7F18418C
	v_exp_f32_e32 v141, v141                                   // 00000000CE0C: 7F1A418D
	v_exp_f32_e32 v142, v142                                   // 00000000CE10: 7F1C418E
	v_exp_f32_e32 v143, v143                                   // 00000000CE14: 7F1E418F
	v_mul_f32_dpp v240, v252, v128 quad_perm:[0,0,0,0] row_mask:0xf bank_mask:0xf// 00000000CE18: 0BE100FA FF0000FC
	v_mul_f32_dpp v241, v252, v129 quad_perm:[1,1,1,1] row_mask:0xf bank_mask:0xf// 00000000CE20: 0BE302FA FF0055FC
	v_mul_f32_dpp v242, v252, v130 quad_perm:[2,2,2,2] row_mask:0xf bank_mask:0xf// 00000000CE28: 0BE504FA FF00AAFC
	v_mul_f32_dpp v243, v252, v131 quad_perm:[3,3,3,3] row_mask:0xf bank_mask:0xf// 00000000CE30: 0BE706FA FF00FFFC
	v_mul_f32_dpp v244, v253, v132 quad_perm:[0,0,0,0] row_mask:0xf bank_mask:0xf// 00000000CE38: 0BE908FA FF0000FD
	v_mul_f32_dpp v245, v253, v133 quad_perm:[1,1,1,1] row_mask:0xf bank_mask:0xf// 00000000CE40: 0BEB0AFA FF0055FD
	v_mul_f32_dpp v246, v253, v134 quad_perm:[2,2,2,2] row_mask:0xf bank_mask:0xf// 00000000CE48: 0BED0CFA FF00AAFD
	v_mul_f32_dpp v247, v253, v135 quad_perm:[3,3,3,3] row_mask:0xf bank_mask:0xf// 00000000CE50: 0BEF0EFA FF00FFFD
	v_mul_f32_dpp v248, v254, v136 quad_perm:[0,0,0,0] row_mask:0xf bank_mask:0xf// 00000000CE58: 0BF110FA FF0000FE
	v_mul_f32_dpp v249, v254, v137 quad_perm:[1,1,1,1] row_mask:0xf bank_mask:0xf// 00000000CE60: 0BF312FA FF0055FE
	v_mul_f32_dpp v250, v254, v138 quad_perm:[2,2,2,2] row_mask:0xf bank_mask:0xf// 00000000CE68: 0BF514FA FF00AAFE
	v_mul_f32_dpp v251, v254, v139 quad_perm:[3,3,3,3] row_mask:0xf bank_mask:0xf// 00000000CE70: 0BF716FA FF00FFFE
	v_mul_f32_dpp v252, v255, v140 quad_perm:[0,0,0,0] row_mask:0xf bank_mask:0xf// 00000000CE78: 0BF918FA FF0000FF
	v_mul_f32_dpp v253, v255, v141 quad_perm:[1,1,1,1] row_mask:0xf bank_mask:0xf// 00000000CE80: 0BFB1AFA FF0055FF
	v_mul_f32_dpp v254, v255, v142 quad_perm:[2,2,2,2] row_mask:0xf bank_mask:0xf// 00000000CE88: 0BFD1CFA FF00AAFF
	v_mul_f32_dpp v255, v255, v143 quad_perm:[3,3,3,3] row_mask:0xf bank_mask:0xf// 00000000CE90: 0BFF1EFA FF00FFFF
	v_mov_b32_e32 v48, 0x358637bd                              // 00000000CE98: 7E6002FF 358637BD
	v_max3_f32 v48, |v240|, |v241|, v48                        // 00000000CEA0: D1D30330 04C3E3F0
	v_max3_f32 v48, |v242|, |v243|, v48                        // 00000000CEA8: D1D30330 04C3E7F2
	v_max3_f32 v48, |v244|, |v245|, v48                        // 00000000CEB0: D1D30330 04C3EBF4
	v_max3_f32 v48, |v246|, |v247|, v48                        // 00000000CEB8: D1D30330 04C3EFF6
	v_max3_f32 v48, |v248|, |v249|, v48                        // 00000000CEC0: D1D30330 04C3F3F8
	v_max3_f32 v48, |v250|, |v251|, v48                        // 00000000CEC8: D1D30330 04C3F7FA
	v_max3_f32 v48, |v252|, |v253|, v48                        // 00000000CED0: D1D30330 04C3FBFC
	v_max3_f32 v48, |v254|, |v255|, v48                        // 00000000CED8: D1D30330 04C3FFFE
	ds_write_b32 v8, v48 offset:20992                          // 00000000CEE0: D81A5200 00003008
	v_sub_f32_e32 v50, v12, v15                                // 00000000CEE8: 04641F0C
	v_cndmask_b32_e64 v50, v50, 0, s[40:41]                    // 00000000CEEC: D1000032 00A10132
	v_mov_b32_e32 v12, v15                                     // 00000000CEF4: 7E18030F
	v_mul_f32_e32 v50, s64, v50                                // 00000000CEF8: 0A646440
	v_exp_f32_e32 v50, v50                                     // 00000000CEFC: 7E644132
	s_waitcnt lgkmcnt(0)                                       // 00000000CF00: BF8CC07F
	s_barrier                                                  // 00000000CF04: BF8A0000
	ds_read_b32 v64, v7 offset:20992                           // 00000000CF08: D86C5200 40000007
	ds_read_b32 v65, v7 offset:21056                           // 00000000CF10: D86C5240 41000007
	ds_read_b32 v66, v7 offset:21120                           // 00000000CF18: D86C5280 42000007
	ds_read_b32 v67, v7 offset:21184                           // 00000000CF20: D86C52C0 43000007
	ds_read_b32 v68, v7 offset:21248                           // 00000000CF28: D86C5300 44000007
	ds_read_b32 v69, v7 offset:21312                           // 00000000CF30: D86C5340 45000007
	ds_read_b32 v70, v7 offset:21376                           // 00000000CF38: D86C5380 46000007
	ds_read_b32 v71, v7 offset:21440                           // 00000000CF40: D86C53C0 47000007
	ds_read_b32 v72, v7 offset:21504                           // 00000000CF48: D86C5400 48000007
	ds_read_b32 v73, v7 offset:21568                           // 00000000CF50: D86C5440 49000007
	ds_read_b32 v74, v7 offset:21632                           // 00000000CF58: D86C5480 4A000007
	ds_read_b32 v75, v7 offset:21696                           // 00000000CF60: D86C54C0 4B000007
	ds_read_b32 v76, v7 offset:21760                           // 00000000CF68: D86C5500 4C000007
	ds_read_b32 v77, v7 offset:21824                           // 00000000CF70: D86C5540 4D000007
	ds_read_b32 v78, v7 offset:21888                           // 00000000CF78: D86C5580 4E000007
	ds_read_b32 v79, v7 offset:21952                           // 00000000CF80: D86C55C0 4F000007
	v_mul_f32_e32 v39, v50, v39                                // 00000000CF88: 0A4E4F32
	v_mov_b32_e32 v15, v128                                    // 00000000CF8C: 7E1E0380
	v_add_f32_e32 v15, v129, v15                               // 00000000CF90: 021E1F81
	v_add_f32_e32 v15, v130, v15                               // 00000000CF94: 021E1F82
	v_add_f32_e32 v15, v131, v15                               // 00000000CF98: 021E1F83
	v_add_f32_e32 v15, v132, v15                               // 00000000CF9C: 021E1F84
	v_add_f32_e32 v15, v133, v15                               // 00000000CFA0: 021E1F85
	v_add_f32_e32 v15, v134, v15                               // 00000000CFA4: 021E1F86
	v_add_f32_e32 v15, v135, v15                               // 00000000CFA8: 021E1F87
	v_add_f32_e32 v15, v136, v15                               // 00000000CFAC: 021E1F88
	v_add_f32_e32 v15, v137, v15                               // 00000000CFB0: 021E1F89
	v_add_f32_e32 v15, v138, v15                               // 00000000CFB4: 021E1F8A
	v_add_f32_e32 v15, v139, v15                               // 00000000CFB8: 021E1F8B
	v_add_f32_e32 v15, v140, v15                               // 00000000CFBC: 021E1F8C
	v_add_f32_e32 v15, v141, v15                               // 00000000CFC0: 021E1F8D
	v_add_f32_e32 v15, v142, v15                               // 00000000CFC4: 021E1F8E
	v_add_f32_e32 v15, v143, v15                               // 00000000CFC8: 021E1F8F
	v_add_f32_e32 v39, v15, v39                                // 00000000CFCC: 024E4F0F
	s_waitcnt lgkmcnt(0)                                       // 00000000CFD0: BF8CC07F
	v_max3_f32 v48, |v64|, |v65|, v48                          // 00000000CFD4: D1D30330 04C28340
	v_max3_f32 v48, |v66|, |v67|, v48                          // 00000000CFDC: D1D30330 04C28742
	v_max3_f32 v48, |v68|, |v69|, v48                          // 00000000CFE4: D1D30330 04C28B44
	v_max3_f32 v48, |v70|, |v71|, v48                          // 00000000CFEC: D1D30330 04C28F46
	v_max3_f32 v48, |v72|, |v73|, v48                          // 00000000CFF4: D1D30330 04C29348
	v_max3_f32 v48, |v74|, |v75|, v48                          // 00000000CFFC: D1D30330 04C2974A
	v_max3_f32 v48, |v76|, |v77|, v48                          // 00000000D004: D1D30330 04C29B4C
	v_max3_f32 v48, |v78|, |v79|, v48                          // 00000000D00C: D1D30330 04C29F4E
	s_nop 2                                                    // 00000000D014: BF800002
	v_rcp_f32_e32 v48, v48                                     // 00000000D018: 7E604530
	s_nop 1                                                    // 00000000D01C: BF800001
	v_mul_f32_e32 v48, 0x42fe0000, v48                         // 00000000D020: 0A6060FF 42FE0000
	v_mul_f32_e32 v128, v48, v240                              // 00000000D028: 0B01E130
	v_mul_f32_e32 v129, v48, v241                              // 00000000D02C: 0B03E330
	v_mul_f32_e32 v130, v48, v242                              // 00000000D030: 0B05E530
	v_mul_f32_e32 v131, v48, v243                              // 00000000D034: 0B07E730
	v_mul_f32_e32 v132, v48, v244                              // 00000000D038: 0B09E930
	v_mul_f32_e32 v133, v48, v245                              // 00000000D03C: 0B0BEB30
	v_mul_f32_e32 v134, v48, v246                              // 00000000D040: 0B0DED30
	v_mul_f32_e32 v135, v48, v247                              // 00000000D044: 0B0FEF30
	v_mul_f32_e32 v136, v48, v248                              // 00000000D048: 0B11F130
	v_mul_f32_e32 v137, v48, v249                              // 00000000D04C: 0B13F330
	v_mul_f32_e32 v138, v48, v250                              // 00000000D050: 0B15F530
	v_mul_f32_e32 v139, v48, v251                              // 00000000D054: 0B17F730
	v_mul_f32_e32 v140, v48, v252                              // 00000000D058: 0B19F930
	v_mul_f32_e32 v141, v48, v253                              // 00000000D05C: 0B1BFB30
	v_mul_f32_e32 v142, v48, v254                              // 00000000D060: 0B1DFD30
	v_mul_f32_e32 v143, v48, v255                              // 00000000D064: 0B1FFF30
	v_cvt_i32_f32_e32 v128, v128                               // 00000000D068: 7F001180
	v_cvt_i32_f32_e32 v129, v129                               // 00000000D06C: 7F021181
	v_cvt_i32_f32_e32 v130, v130                               // 00000000D070: 7F041182
	v_cvt_i32_f32_e32 v131, v131                               // 00000000D074: 7F061183
	v_cvt_i32_f32_e32 v132, v132                               // 00000000D078: 7F081184
	v_cvt_i32_f32_e32 v133, v133                               // 00000000D07C: 7F0A1185
	v_cvt_i32_f32_e32 v134, v134                               // 00000000D080: 7F0C1186
	v_cvt_i32_f32_e32 v135, v135                               // 00000000D084: 7F0E1187
	v_cvt_i32_f32_e32 v136, v136                               // 00000000D088: 7F101188
	v_cvt_i32_f32_e32 v137, v137                               // 00000000D08C: 7F121189
	v_cvt_i32_f32_e32 v138, v138                               // 00000000D090: 7F14118A
	v_cvt_i32_f32_e32 v139, v139                               // 00000000D094: 7F16118B
	v_cvt_i32_f32_e32 v140, v140                               // 00000000D098: 7F18118C
	v_cvt_i32_f32_e32 v141, v141                               // 00000000D09C: 7F1A118D
	v_cvt_i32_f32_e32 v142, v142                               // 00000000D0A0: 7F1C118E
	v_cvt_i32_f32_e32 v143, v143                               // 00000000D0A4: 7F1E118F
	v_perm_b32 v128, v129, v128, s53                           // 00000000D0A8: D1ED0080 00D70181
	v_perm_b32 v128, v130, v128, s54                           // 00000000D0B0: D1ED0080 00DB0182
	v_perm_b32 v128, v131, v128, s55                           // 00000000D0B8: D1ED0080 00DF0183
	v_perm_b32 v129, v133, v132, s53                           // 00000000D0C0: D1ED0081 00D70985
	v_perm_b32 v129, v134, v129, s54                           // 00000000D0C8: D1ED0081 00DB0386
	v_perm_b32 v129, v135, v129, s55                           // 00000000D0D0: D1ED0081 00DF0387
	v_perm_b32 v130, v137, v136, s53                           // 00000000D0D8: D1ED0082 00D71189
	v_perm_b32 v130, v138, v130, s54                           // 00000000D0E0: D1ED0082 00DB058A
	v_perm_b32 v130, v139, v130, s55                           // 00000000D0E8: D1ED0082 00DF058B
	v_perm_b32 v131, v141, v140, s53                           // 00000000D0F0: D1ED0083 00D7198D
	v_perm_b32 v131, v142, v131, s54                           // 00000000D0F8: D1ED0083 00DB078E
	v_perm_b32 v131, v143, v131, s55                           // 00000000D100: D1ED0083 00DF078F
	ds_write_b32 v10, v128 offset:29184                        // 00000000D108: D81A7200 0000800A
	ds_write_b32 v10, v129 offset:30208                        // 00000000D110: D81A7600 0000810A
	ds_write_b32 v10, v130 offset:31232                        // 00000000D118: D81A7A00 0000820A
	ds_write_b32 v10, v131 offset:32256                        // 00000000D120: D81A7E00 0000830A
	v_add_f32_e32 v216, v216, v184                             // 00000000D128: 03B171D8
	v_add_f32_e32 v217, v217, v185                             // 00000000D12C: 03B373D9
	v_add_f32_e32 v218, v218, v186                             // 00000000D130: 03B575DA
	v_add_f32_e32 v219, v219, v187                             // 00000000D134: 03B777DB
	v_add_f32_e32 v220, v220, v188                             // 00000000D138: 03B979DC
	v_add_f32_e32 v221, v221, v189                             // 00000000D13C: 03BB7BDD
	v_add_f32_e32 v222, v222, v190                             // 00000000D140: 03BD7DDE
	v_add_f32_e32 v223, v223, v191                             // 00000000D144: 03BF7FDF
	v_rcp_f32_e32 v45, v48                                     // 00000000D148: 7E5A4530
	s_waitcnt lgkmcnt(0)                                       // 00000000D14C: BF8CC07F
	s_barrier                                                  // 00000000D150: BF8A0000
	ds_read_b64 v[128:129], v9 offset:29184                    // 00000000D154: D8EC7200 80000009
	ds_read_b64 v[130:131], v9 offset:29312                    // 00000000D15C: D8EC7280 82000009
	ds_read_b64 v[132:133], v9 offset:30208                    // 00000000D164: D8EC7600 84000009
	ds_read_b64 v[134:135], v9 offset:30336                    // 00000000D16C: D8EC7680 86000009
	ds_read_b64 v[136:137], v9 offset:31232                    // 00000000D174: D8EC7A00 88000009
	ds_read_b64 v[138:139], v9 offset:31360                    // 00000000D17C: D8EC7A80 8A000009
	ds_read_b64 v[140:141], v9 offset:32256                    // 00000000D184: D8EC7E00 8C000009
	ds_read_b64 v[142:143], v9 offset:32384                    // 00000000D18C: D8EC7E80 8E000009
	s_waitcnt vmcnt(0)                                         // 00000000D194: BF8C0F70
	s_barrier                                                  // 00000000D198: BF8A0000
	v_mfma_i32_16x16x32_i8 v[176:179], a[64:65], v[112:113], 0 // 00000000D19C: D3D700B0 0A02E140
	v_mfma_i32_16x16x32_i8 v[176:179], a[66:67], v[114:115], v[176:179]// 00000000D1A4: D3D700B0 0EC2E542
	v_mfma_i32_16x16x32_i8 v[176:179], a[68:69], v[116:117], v[176:179]// 00000000D1AC: D3D700B0 0EC2E944
	v_mfma_i32_16x16x32_i8 v[176:179], a[70:71], v[118:119], v[176:179]// 00000000D1B4: D3D700B0 0EC2ED46
	v_mfma_i32_16x16x32_i8 v[176:179], a[72:73], v[120:121], v[176:179]// 00000000D1BC: D3D700B0 0EC2F148
	v_mfma_i32_16x16x32_i8 v[176:179], a[74:75], v[122:123], v[176:179]// 00000000D1C4: D3D700B0 0EC2F54A
	v_mfma_i32_16x16x32_i8 v[176:179], a[76:77], v[124:125], v[176:179]// 00000000D1CC: D3D700B0 0EC2F94C
	v_mfma_i32_16x16x32_i8 v[176:179], a[78:79], v[126:127], v[176:179]// 00000000D1D4: D3D700B0 0EC2FD4E
	v_mfma_i32_16x16x32_i8 v[180:183], a[80:81], v[112:113], 0 // 00000000D1DC: D3D700B4 0A02E150
	v_mfma_i32_16x16x32_i8 v[180:183], a[82:83], v[114:115], v[180:183]// 00000000D1E4: D3D700B4 0ED2E552
	v_mfma_i32_16x16x32_i8 v[180:183], a[84:85], v[116:117], v[180:183]// 00000000D1EC: D3D700B4 0ED2E954
	v_mfma_i32_16x16x32_i8 v[180:183], a[86:87], v[118:119], v[180:183]// 00000000D1F4: D3D700B4 0ED2ED56
	v_mfma_i32_16x16x32_i8 v[180:183], a[88:89], v[120:121], v[180:183]// 00000000D1FC: D3D700B4 0ED2F158
	v_mfma_i32_16x16x32_i8 v[180:183], a[90:91], v[122:123], v[180:183]// 00000000D204: D3D700B4 0ED2F55A
	v_mfma_i32_16x16x32_i8 v[180:183], a[92:93], v[124:125], v[180:183]// 00000000D20C: D3D700B4 0ED2F95C
	v_mfma_i32_16x16x32_i8 v[180:183], a[94:95], v[126:127], v[180:183]// 00000000D214: D3D700B4 0ED2FD5E
	v_mfma_i32_16x16x32_i8 v[184:187], a[64:65], v[128:129], 0 // 00000000D21C: D3D700B8 0A030140
	v_mfma_i32_16x16x32_i8 v[184:187], a[66:67], v[130:131], v[184:187]// 00000000D224: D3D700B8 0EE30542
	v_mfma_i32_16x16x32_i8 v[184:187], a[68:69], v[132:133], v[184:187]// 00000000D22C: D3D700B8 0EE30944
	v_mfma_i32_16x16x32_i8 v[184:187], a[70:71], v[134:135], v[184:187]// 00000000D234: D3D700B8 0EE30D46
	v_mfma_i32_16x16x32_i8 v[184:187], a[72:73], v[136:137], v[184:187]// 00000000D23C: D3D700B8 0EE31148
	v_mfma_i32_16x16x32_i8 v[184:187], a[74:75], v[138:139], v[184:187]// 00000000D244: D3D700B8 0EE3154A
	v_mfma_i32_16x16x32_i8 v[184:187], a[76:77], v[140:141], v[184:187]// 00000000D24C: D3D700B8 0EE3194C
	v_mfma_i32_16x16x32_i8 v[184:187], a[78:79], v[142:143], v[184:187]// 00000000D254: D3D700B8 0EE31D4E
	v_mfma_i32_16x16x32_i8 v[188:191], a[80:81], v[128:129], 0 // 00000000D25C: D3D700BC 0A030150
	v_mfma_i32_16x16x32_i8 v[188:191], a[82:83], v[130:131], v[188:191]// 00000000D264: D3D700BC 0EF30552
	v_mfma_i32_16x16x32_i8 v[188:191], a[84:85], v[132:133], v[188:191]// 00000000D26C: D3D700BC 0EF30954
	v_mfma_i32_16x16x32_i8 v[188:191], a[86:87], v[134:135], v[188:191]// 00000000D274: D3D700BC 0EF30D56
	v_mfma_i32_16x16x32_i8 v[188:191], a[88:89], v[136:137], v[188:191]// 00000000D27C: D3D700BC 0EF31158
	v_mfma_i32_16x16x32_i8 v[188:191], a[90:91], v[138:139], v[188:191]// 00000000D284: D3D700BC 0EF3155A
	v_mfma_i32_16x16x32_i8 v[188:191], a[92:93], v[140:141], v[188:191]// 00000000D28C: D3D700BC 0EF3195C
	v_mfma_i32_16x16x32_i8 v[188:191], a[94:95], v[142:143], v[188:191]// 00000000D294: D3D700BC 0EF31D5E
	s_nop 4                                                    // 00000000D29C: BF800004
	s_branch label_3163                                        // 00000000D2A0: BF82053A

000000000000d2a4 <label_2C29>:
	s_waitcnt vmcnt(8) lgkmcnt(0)                              // 00000000D2A4: BF8C0078
	s_barrier                                                  // 00000000D2A8: BF8A0000
	v_mfma_i32_16x16x32_i8 v[112:115], a[32:33], v[80:81], 0   // 00000000D2AC: D3D70070 0A02A120
	v_mfma_i32_16x16x32_i8 v[112:115], a[34:35], v[82:83], v[112:115]// 00000000D2B4: D3D70070 0DC2A522
	v_mfma_i32_16x16x32_i8 v[112:115], a[36:37], v[84:85], v[112:115]// 00000000D2BC: D3D70070 0DC2A924
	v_mfma_i32_16x16x32_i8 v[112:115], a[38:39], v[86:87], v[112:115]// 00000000D2C4: D3D70070 0DC2AD26
	v_mfma_i32_16x16x32_i8 v[116:119], a[40:41], v[80:81], 0   // 00000000D2CC: D3D70074 0A02A128
	v_mfma_i32_16x16x32_i8 v[116:119], a[42:43], v[82:83], v[116:119]// 00000000D2D4: D3D70074 0DD2A52A
	v_mfma_i32_16x16x32_i8 v[116:119], a[44:45], v[84:85], v[116:119]// 00000000D2DC: D3D70074 0DD2A92C
	v_mfma_i32_16x16x32_i8 v[116:119], a[46:47], v[86:87], v[116:119]// 00000000D2E4: D3D70074 0DD2AD2E
	v_mfma_i32_16x16x32_i8 v[120:123], a[48:49], v[80:81], 0   // 00000000D2EC: D3D70078 0A02A130
	v_mfma_i32_16x16x32_i8 v[120:123], a[50:51], v[82:83], v[120:123]// 00000000D2F4: D3D70078 0DE2A532
	v_mfma_i32_16x16x32_i8 v[120:123], a[52:53], v[84:85], v[120:123]// 00000000D2FC: D3D70078 0DE2A934
	v_mfma_i32_16x16x32_i8 v[120:123], a[54:55], v[86:87], v[120:123]// 00000000D304: D3D70078 0DE2AD36
	v_mfma_i32_16x16x32_i8 v[124:127], a[56:57], v[80:81], 0   // 00000000D30C: D3D7007C 0A02A138
	v_mfma_i32_16x16x32_i8 v[124:127], a[58:59], v[82:83], v[124:127]// 00000000D314: D3D7007C 0DF2A53A
	v_mfma_i32_16x16x32_i8 v[124:127], a[60:61], v[84:85], v[124:127]// 00000000D31C: D3D7007C 0DF2A93C
	v_mfma_i32_16x16x32_i8 v[124:127], a[62:63], v[86:87], v[124:127]// 00000000D324: D3D7007C 0DF2AD3E
	v_mfma_i32_16x16x32_i8 v[128:131], a[32:33], v[88:89], 0   // 00000000D32C: D3D70080 0A02B120
	v_mfma_i32_16x16x32_i8 v[128:131], a[34:35], v[90:91], v[128:131]// 00000000D334: D3D70080 0E02B522
	v_mfma_i32_16x16x32_i8 v[128:131], a[36:37], v[92:93], v[128:131]// 00000000D33C: D3D70080 0E02B924
	v_mfma_i32_16x16x32_i8 v[128:131], a[38:39], v[94:95], v[128:131]// 00000000D344: D3D70080 0E02BD26
	v_mfma_i32_16x16x32_i8 v[132:135], a[40:41], v[88:89], 0   // 00000000D34C: D3D70084 0A02B128
	v_mfma_i32_16x16x32_i8 v[132:135], a[42:43], v[90:91], v[132:135]// 00000000D354: D3D70084 0E12B52A
	v_mfma_i32_16x16x32_i8 v[132:135], a[44:45], v[92:93], v[132:135]// 00000000D35C: D3D70084 0E12B92C
	v_mfma_i32_16x16x32_i8 v[132:135], a[46:47], v[94:95], v[132:135]// 00000000D364: D3D70084 0E12BD2E
	v_mfma_i32_16x16x32_i8 v[136:139], a[48:49], v[88:89], 0   // 00000000D36C: D3D70088 0A02B130
	v_mfma_i32_16x16x32_i8 v[136:139], a[50:51], v[90:91], v[136:139]// 00000000D374: D3D70088 0E22B532
	v_mfma_i32_16x16x32_i8 v[136:139], a[52:53], v[92:93], v[136:139]// 00000000D37C: D3D70088 0E22B934
	v_mfma_i32_16x16x32_i8 v[136:139], a[54:55], v[94:95], v[136:139]// 00000000D384: D3D70088 0E22BD36
	v_mfma_i32_16x16x32_i8 v[140:143], a[56:57], v[88:89], 0   // 00000000D38C: D3D7008C 0A02B138
	v_mfma_i32_16x16x32_i8 v[140:143], a[58:59], v[90:91], v[140:143]// 00000000D394: D3D7008C 0E32B53A
	v_mfma_i32_16x16x32_i8 v[140:143], a[60:61], v[92:93], v[140:143]// 00000000D39C: D3D7008C 0E32B93C
	v_mfma_i32_16x16x32_i8 v[140:143], a[62:63], v[94:95], v[140:143]// 00000000D3A4: D3D7008C 0E32BD3E
	v_mov_b32_dpp v64, v43 row_shr:4 row_mask:0xf bank_mask:0xf// 00000000D3AC: 7E8002FA FF01142B
	v_mov_b32_dpp v65, v43 row_shl:4 row_mask:0xf bank_mask:0xf// 00000000D3B4: 7E8202FA FF01042B
	v_cndmask_b32_e64 v248, v43, v64, s[44:45]                 // 00000000D3BC: D10000F8 00B2812B
	v_cndmask_b32_e64 v249, v65, v43, s[44:45]                 // 00000000D3C4: D10000F9 00B25741
	v_mov_b32_dpp v64, v248 row_shr:8 row_mask:0xf bank_mask:0xf// 00000000D3CC: 7E8002FA FF0118F8
	v_mov_b32_dpp v65, v248 row_shl:8 row_mask:0xf bank_mask:0xf// 00000000D3D4: 7E8202FA FF0108F8
	v_mov_b32_dpp v66, v249 row_shr:8 row_mask:0xf bank_mask:0xf// 00000000D3DC: 7E8402FA FF0118F9
	v_mov_b32_dpp v67, v249 row_shl:8 row_mask:0xf bank_mask:0xf// 00000000D3E4: 7E8602FA FF0108F9
	v_mov_b32_e32 v68, v248                                    // 00000000D3EC: 7E8803F8
	v_mov_b32_e32 v69, v249                                    // 00000000D3F0: 7E8A03F9
	v_cndmask_b32_e64 v248, v68, v64, s[42:43]                 // 00000000D3F4: D10000F8 00AA8144
	v_cndmask_b32_e64 v250, v68, v65, s[78:79]                 // 00000000D3FC: D10000FA 013A8344
	v_cndmask_b32_e64 v249, v69, v66, s[42:43]                 // 00000000D404: D10000F9 00AA8545
	v_cndmask_b32_e64 v251, v69, v67, s[78:79]                 // 00000000D40C: D10000FB 013A8745
	v_mov_b32_dpp v64, v58 row_shr:4 row_mask:0xf bank_mask:0xf// 00000000D414: 7E8002FA FF01143A
	v_mov_b32_dpp v65, v58 row_shl:4 row_mask:0xf bank_mask:0xf// 00000000D41C: 7E8202FA FF01043A
	v_cndmask_b32_e64 v252, v58, v64, s[44:45]                 // 00000000D424: D10000FC 00B2813A
	v_cndmask_b32_e64 v253, v65, v58, s[44:45]                 // 00000000D42C: D10000FD 00B27541
	v_mov_b32_dpp v64, v252 row_shr:8 row_mask:0xf bank_mask:0xf// 00000000D434: 7E8002FA FF0118FC
	v_mov_b32_dpp v65, v252 row_shl:8 row_mask:0xf bank_mask:0xf// 00000000D43C: 7E8202FA FF0108FC
	v_mov_b32_dpp v66, v253 row_shr:8 row_mask:0xf bank_mask:0xf// 00000000D444: 7E8402FA FF0118FD
	v_mov_b32_dpp v67, v253 row_shl:8 row_mask:0xf bank_mask:0xf// 00000000D44C: 7E8602FA FF0108FD
	v_mov_b32_e32 v68, v252                                    // 00000000D454: 7E8803FC
	v_mov_b32_e32 v69, v253                                    // 00000000D458: 7E8A03FD
	v_cndmask_b32_e64 v252, v68, v64, s[42:43]                 // 00000000D45C: D10000FC 00AA8144
	v_cndmask_b32_e64 v254, v68, v65, s[78:79]                 // 00000000D464: D10000FE 013A8344
	v_cndmask_b32_e64 v253, v69, v66, s[42:43]                 // 00000000D46C: D10000FD 00AA8545
	v_cndmask_b32_e64 v255, v69, v67, s[78:79]                 // 00000000D474: D10000FF 013A8745
	v_cvt_f32_i32_e32 v112, v112                               // 00000000D47C: 7EE00B70
	v_cvt_f32_i32_e32 v113, v113                               // 00000000D480: 7EE20B71
	v_cvt_f32_i32_e32 v114, v114                               // 00000000D484: 7EE40B72
	v_cvt_f32_i32_e32 v115, v115                               // 00000000D488: 7EE60B73
	v_cvt_f32_i32_e32 v116, v116                               // 00000000D48C: 7EE80B74
	v_cvt_f32_i32_e32 v117, v117                               // 00000000D490: 7EEA0B75
	v_cvt_f32_i32_e32 v118, v118                               // 00000000D494: 7EEC0B76
	v_cvt_f32_i32_e32 v119, v119                               // 00000000D498: 7EEE0B77
	v_cvt_f32_i32_e32 v120, v120                               // 00000000D49C: 7EF00B78
	v_cvt_f32_i32_e32 v121, v121                               // 00000000D4A0: 7EF20B79
	v_cvt_f32_i32_e32 v122, v122                               // 00000000D4A4: 7EF40B7A
	v_cvt_f32_i32_e32 v123, v123                               // 00000000D4A8: 7EF60B7B
	v_cvt_f32_i32_e32 v124, v124                               // 00000000D4AC: 7EF80B7C
	v_cvt_f32_i32_e32 v125, v125                               // 00000000D4B0: 7EFA0B7D
	v_cvt_f32_i32_e32 v126, v126                               // 00000000D4B4: 7EFC0B7E
	v_cvt_f32_i32_e32 v127, v127                               // 00000000D4B8: 7EFE0B7F
	v_mul_f32_e32 v112, v18, v112                              // 00000000D4BC: 0AE0E112
	v_mul_f32_e32 v113, v18, v113                              // 00000000D4C0: 0AE2E312
	v_mul_f32_e32 v114, v18, v114                              // 00000000D4C4: 0AE4E512
	v_mul_f32_e32 v115, v18, v115                              // 00000000D4C8: 0AE6E712
	v_mul_f32_e32 v116, v18, v116                              // 00000000D4CC: 0AE8E912
	v_mul_f32_e32 v117, v18, v117                              // 00000000D4D0: 0AEAEB12
	v_mul_f32_e32 v118, v18, v118                              // 00000000D4D4: 0AECED12
	v_mul_f32_e32 v119, v18, v119                              // 00000000D4D8: 0AEEEF12
	v_mul_f32_e32 v120, v18, v120                              // 00000000D4DC: 0AF0F112
	v_mul_f32_e32 v121, v18, v121                              // 00000000D4E0: 0AF2F312
	v_mul_f32_e32 v122, v18, v122                              // 00000000D4E4: 0AF4F512
	v_mul_f32_e32 v123, v18, v123                              // 00000000D4E8: 0AF6F712
	v_mul_f32_e32 v124, v18, v124                              // 00000000D4EC: 0AF8F912
	v_mul_f32_e32 v125, v18, v125                              // 00000000D4F0: 0AFAFB12
	v_mul_f32_e32 v126, v18, v126                              // 00000000D4F4: 0AFCFD12
	v_mul_f32_e32 v127, v18, v127                              // 00000000D4F8: 0AFEFF12
	v_mul_f32_dpp v112, v248, v112 quad_perm:[0,0,0,0] row_mask:0xf bank_mask:0xf// 00000000D4FC: 0AE0E0FA FF0000F8
	v_mul_f32_dpp v113, v248, v113 quad_perm:[1,1,1,1] row_mask:0xf bank_mask:0xf// 00000000D504: 0AE2E2FA FF0055F8
	v_mul_f32_dpp v114, v248, v114 quad_perm:[2,2,2,2] row_mask:0xf bank_mask:0xf// 00000000D50C: 0AE4E4FA FF00AAF8
	v_mul_f32_dpp v115, v248, v115 quad_perm:[3,3,3,3] row_mask:0xf bank_mask:0xf// 00000000D514: 0AE6E6FA FF00FFF8
	v_mul_f32_dpp v116, v249, v116 quad_perm:[0,0,0,0] row_mask:0xf bank_mask:0xf// 00000000D51C: 0AE8E8FA FF0000F9
	v_mul_f32_dpp v117, v249, v117 quad_perm:[1,1,1,1] row_mask:0xf bank_mask:0xf// 00000000D524: 0AEAEAFA FF0055F9
	v_mul_f32_dpp v118, v249, v118 quad_perm:[2,2,2,2] row_mask:0xf bank_mask:0xf// 00000000D52C: 0AECECFA FF00AAF9
	v_mul_f32_dpp v119, v249, v119 quad_perm:[3,3,3,3] row_mask:0xf bank_mask:0xf// 00000000D534: 0AEEEEFA FF00FFF9
	v_mul_f32_dpp v120, v250, v120 quad_perm:[0,0,0,0] row_mask:0xf bank_mask:0xf// 00000000D53C: 0AF0F0FA FF0000FA
	v_mul_f32_dpp v121, v250, v121 quad_perm:[1,1,1,1] row_mask:0xf bank_mask:0xf// 00000000D544: 0AF2F2FA FF0055FA
	v_mul_f32_dpp v122, v250, v122 quad_perm:[2,2,2,2] row_mask:0xf bank_mask:0xf// 00000000D54C: 0AF4F4FA FF00AAFA
	v_mul_f32_dpp v123, v250, v123 quad_perm:[3,3,3,3] row_mask:0xf bank_mask:0xf// 00000000D554: 0AF6F6FA FF00FFFA
	v_mul_f32_dpp v124, v251, v124 quad_perm:[0,0,0,0] row_mask:0xf bank_mask:0xf// 00000000D55C: 0AF8F8FA FF0000FB
	v_mul_f32_dpp v125, v251, v125 quad_perm:[1,1,1,1] row_mask:0xf bank_mask:0xf// 00000000D564: 0AFAFAFA FF0055FB
	v_mul_f32_dpp v126, v251, v126 quad_perm:[2,2,2,2] row_mask:0xf bank_mask:0xf// 00000000D56C: 0AFCFCFA FF00AAFB
	v_mul_f32_dpp v127, v251, v127 quad_perm:[3,3,3,3] row_mask:0xf bank_mask:0xf// 00000000D574: 0AFEFEFA FF00FFFB
	s_and_b32 s60, s72, 0xff                                   // 00000000D57C: 863CFF48 000000FF
	v_mov_b32_e32 v65, s60                                     // 00000000D584: 7E82023C
	v_lshrrev_b32_e32 v240, 4, v0                              // 00000000D588: 21E00084
	v_mul_i32_i24_e32 v240, 4, v240                            // 00000000D58C: 0DE1E084
	s_mul_i32 s60, s7, 16                                      // 00000000D590: 923C9007
	v_add_u32_e32 v240, s60, v240                              // 00000000D594: 69E1E03C
	v_add_u32_e32 v241, 1, v240                                // 00000000D598: 69E3E081
	v_add_u32_e32 v242, 2, v240                                // 00000000D59C: 69E5E082
	v_add_u32_e32 v243, 3, v240                                // 00000000D5A0: 69E7E083
	v_mov_b32_e32 v64, 0xff800000                              // 00000000D5A4: 7E8002FF FF800000
	v_cmp_lt_u32_e64 s[40:41], v240, v65                       // 00000000D5AC: D0C90028 000283F0
	v_add_u32_e32 v240, 64, v240                               // 00000000D5B4: 69E1E0C0
	s_nop 0                                                    // 00000000D5B8: BF800000
	v_cndmask_b32_e64 v112, v64, v112, s[40:41]                // 00000000D5BC: D1000070 00A2E140
	v_cmp_lt_u32_e64 s[40:41], v241, v65                       // 00000000D5C4: D0C90028 000283F1
	v_add_u32_e32 v241, 64, v241                               // 00000000D5CC: 69E3E2C0
	s_nop 0                                                    // 00000000D5D0: BF800000
	v_cndmask_b32_e64 v113, v64, v113, s[40:41]                // 00000000D5D4: D1000071 00A2E340
	v_cmp_lt_u32_e64 s[40:41], v242, v65                       // 00000000D5DC: D0C90028 000283F2
	v_add_u32_e32 v242, 64, v242                               // 00000000D5E4: 69E5E4C0
	s_nop 0                                                    // 00000000D5E8: BF800000
	v_cndmask_b32_e64 v114, v64, v114, s[40:41]                // 00000000D5EC: D1000072 00A2E540
	v_cmp_lt_u32_e64 s[40:41], v243, v65                       // 00000000D5F4: D0C90028 000283F3
	v_add_u32_e32 v243, 64, v243                               // 00000000D5FC: 69E7E6C0
	s_nop 0                                                    // 00000000D600: BF800000
	v_cndmask_b32_e64 v115, v64, v115, s[40:41]                // 00000000D604: D1000073 00A2E740
	v_cmp_lt_u32_e64 s[40:41], v240, v65                       // 00000000D60C: D0C90028 000283F0
	v_add_u32_e32 v240, 64, v240                               // 00000000D614: 69E1E0C0
	s_nop 0                                                    // 00000000D618: BF800000
	v_cndmask_b32_e64 v116, v64, v116, s[40:41]                // 00000000D61C: D1000074 00A2E940
	v_cmp_lt_u32_e64 s[40:41], v241, v65                       // 00000000D624: D0C90028 000283F1
	v_add_u32_e32 v241, 64, v241                               // 00000000D62C: 69E3E2C0
	s_nop 0                                                    // 00000000D630: BF800000
	v_cndmask_b32_e64 v117, v64, v117, s[40:41]                // 00000000D634: D1000075 00A2EB40
	v_cmp_lt_u32_e64 s[40:41], v242, v65                       // 00000000D63C: D0C90028 000283F2
	v_add_u32_e32 v242, 64, v242                               // 00000000D644: 69E5E4C0
	s_nop 0                                                    // 00000000D648: BF800000
	v_cndmask_b32_e64 v118, v64, v118, s[40:41]                // 00000000D64C: D1000076 00A2ED40
	v_cmp_lt_u32_e64 s[40:41], v243, v65                       // 00000000D654: D0C90028 000283F3
	v_add_u32_e32 v243, 64, v243                               // 00000000D65C: 69E7E6C0
	s_nop 0                                                    // 00000000D660: BF800000
	v_cndmask_b32_e64 v119, v64, v119, s[40:41]                // 00000000D664: D1000077 00A2EF40
	v_cmp_lt_u32_e64 s[40:41], v240, v65                       // 00000000D66C: D0C90028 000283F0
	v_add_u32_e32 v240, 64, v240                               // 00000000D674: 69E1E0C0
	s_nop 0                                                    // 00000000D678: BF800000
	v_cndmask_b32_e64 v120, v64, v120, s[40:41]                // 00000000D67C: D1000078 00A2F140
	v_cmp_lt_u32_e64 s[40:41], v241, v65                       // 00000000D684: D0C90028 000283F1
	v_add_u32_e32 v241, 64, v241                               // 00000000D68C: 69E3E2C0
	s_nop 0                                                    // 00000000D690: BF800000
	v_cndmask_b32_e64 v121, v64, v121, s[40:41]                // 00000000D694: D1000079 00A2F340
	v_cmp_lt_u32_e64 s[40:41], v242, v65                       // 00000000D69C: D0C90028 000283F2
	v_add_u32_e32 v242, 64, v242                               // 00000000D6A4: 69E5E4C0
	s_nop 0                                                    // 00000000D6A8: BF800000
	v_cndmask_b32_e64 v122, v64, v122, s[40:41]                // 00000000D6AC: D100007A 00A2F540
	v_cmp_lt_u32_e64 s[40:41], v243, v65                       // 00000000D6B4: D0C90028 000283F3
	v_add_u32_e32 v243, 64, v243                               // 00000000D6BC: 69E7E6C0
	s_nop 0                                                    // 00000000D6C0: BF800000
	v_cndmask_b32_e64 v123, v64, v123, s[40:41]                // 00000000D6C4: D100007B 00A2F740
	v_cmp_lt_u32_e64 s[40:41], v240, v65                       // 00000000D6CC: D0C90028 000283F0
	v_add_u32_e32 v240, 64, v240                               // 00000000D6D4: 69E1E0C0
	s_nop 0                                                    // 00000000D6D8: BF800000
	v_cndmask_b32_e64 v124, v64, v124, s[40:41]                // 00000000D6DC: D100007C 00A2F940
	v_cmp_lt_u32_e64 s[40:41], v241, v65                       // 00000000D6E4: D0C90028 000283F1
	v_add_u32_e32 v241, 64, v241                               // 00000000D6EC: 69E3E2C0
	s_nop 0                                                    // 00000000D6F0: BF800000
	v_cndmask_b32_e64 v125, v64, v125, s[40:41]                // 00000000D6F4: D100007D 00A2FB40
	v_cmp_lt_u32_e64 s[40:41], v242, v65                       // 00000000D6FC: D0C90028 000283F2
	v_add_u32_e32 v242, 64, v242                               // 00000000D704: 69E5E4C0
	s_nop 0                                                    // 00000000D708: BF800000
	v_cndmask_b32_e64 v126, v64, v126, s[40:41]                // 00000000D70C: D100007E 00A2FD40
	v_cmp_lt_u32_e64 s[40:41], v243, v65                       // 00000000D714: D0C90028 000283F3
	v_add_u32_e32 v243, 64, v243                               // 00000000D71C: 69E7E6C0
	s_nop 0                                                    // 00000000D720: BF800000
	v_cndmask_b32_e64 v127, v64, v127, s[40:41]                // 00000000D724: D100007F 00A2FF40
	v_mov_b32_e32 v48, v112                                    // 00000000D72C: 7E600370
	v_max3_f32 v48, v112, v113, v48                            // 00000000D730: D1D30030 04C2E370
	v_max3_f32 v48, v114, v115, v48                            // 00000000D738: D1D30030 04C2E772
	v_max3_f32 v48, v116, v117, v48                            // 00000000D740: D1D30030 04C2EB74
	v_max3_f32 v48, v118, v119, v48                            // 00000000D748: D1D30030 04C2EF76
	v_max3_f32 v48, v120, v121, v48                            // 00000000D750: D1D30030 04C2F378
	v_max3_f32 v48, v122, v123, v48                            // 00000000D758: D1D30030 04C2F77A
	v_max3_f32 v48, v124, v125, v48                            // 00000000D760: D1D30030 04C2FB7C
	v_max3_f32 v48, v126, v127, v48                            // 00000000D768: D1D30030 04C2FF7E
	ds_write_b32 v8, v48 offset:16896                          // 00000000D770: D81A4200 00003008
	v_mul_u32_u24_dpp v64, v16, v54 row_newbcast:1 row_mask:0xf bank_mask:0xf// 00000000D778: 10806CFA FF015110
	v_mul_u32_u24_dpp v65, v16, v54 row_newbcast:5 row_mask:0xf bank_mask:0xf// 00000000D780: 10826CFA FF015510
	v_mul_u32_u24_dpp v66, v16, v54 row_newbcast:9 row_mask:0xf bank_mask:0xf// 00000000D788: 10846CFA FF015910
	v_mul_u32_u24_dpp v67, v16, v54 row_newbcast:13 row_mask:0xf bank_mask:0xf// 00000000D790: 10866CFA FF015D10
	v_add_u32_e32 v30, v64, v6                                 // 00000000D798: 683C0D40
	v_add_u32_e32 v31, v65, v6                                 // 00000000D79C: 683E0D41
	v_add_u32_e32 v32, v66, v6                                 // 00000000D7A0: 68400D42
	v_add_u32_e32 v33, v67, v6                                 // 00000000D7A4: 68420D43
	v_mul_f32_e32 v208, v49, v208                              // 00000000D7A8: 0BA1A131
	v_mul_f32_e32 v209, v49, v209                              // 00000000D7AC: 0BA3A331
	v_mul_f32_e32 v210, v49, v210                              // 00000000D7B0: 0BA5A531
	v_mul_f32_e32 v211, v49, v211                              // 00000000D7B4: 0BA7A731
	v_mul_f32_e32 v212, v49, v212                              // 00000000D7B8: 0BA9A931
	v_mul_f32_e32 v213, v49, v213                              // 00000000D7BC: 0BABAB31
	v_mul_f32_e32 v214, v49, v214                              // 00000000D7C0: 0BADAD31
	v_mul_f32_e32 v215, v49, v215                              // 00000000D7C4: 0BAFAF31
	s_waitcnt lgkmcnt(0)                                       // 00000000D7C8: BF8CC07F
	s_barrier                                                  // 00000000D7CC: BF8A0000
	ds_read_b32 v64, v7 offset:16896                           // 00000000D7D0: D86C4200 40000007
	ds_read_b32 v65, v7 offset:16960                           // 00000000D7D8: D86C4240 41000007
	ds_read_b32 v66, v7 offset:17024                           // 00000000D7E0: D86C4280 42000007
	ds_read_b32 v67, v7 offset:17088                           // 00000000D7E8: D86C42C0 43000007
	ds_read_b32 v68, v7 offset:17152                           // 00000000D7F0: D86C4300 44000007
	ds_read_b32 v69, v7 offset:17216                           // 00000000D7F8: D86C4340 45000007
	ds_read_b32 v70, v7 offset:17280                           // 00000000D800: D86C4380 46000007
	ds_read_b32 v71, v7 offset:17344                           // 00000000D808: D86C43C0 47000007
	ds_read_b32 v72, v7 offset:17408                           // 00000000D810: D86C4400 48000007
	ds_read_b32 v73, v7 offset:17472                           // 00000000D818: D86C4440 49000007
	ds_read_b32 v74, v7 offset:17536                           // 00000000D820: D86C4480 4A000007
	ds_read_b32 v75, v7 offset:17600                           // 00000000D828: D86C44C0 4B000007
	ds_read_b32 v76, v7 offset:17664                           // 00000000D830: D86C4500 4C000007
	ds_read_b32 v77, v7 offset:17728                           // 00000000D838: D86C4540 4D000007
	ds_read_b32 v78, v7 offset:17792                           // 00000000D840: D86C4580 4E000007
	ds_read_b32 v79, v7 offset:17856                           // 00000000D848: D86C45C0 4F000007
	v_cvt_f32_i32_e32 v176, v176                               // 00000000D850: 7F600BB0
	v_cvt_f32_i32_e32 v177, v177                               // 00000000D854: 7F620BB1
	v_cvt_f32_i32_e32 v178, v178                               // 00000000D858: 7F640BB2
	v_cvt_f32_i32_e32 v179, v179                               // 00000000D85C: 7F660BB3
	v_cvt_f32_i32_e32 v180, v180                               // 00000000D860: 7F680BB4
	v_cvt_f32_i32_e32 v181, v181                               // 00000000D864: 7F6A0BB5
	v_cvt_f32_i32_e32 v182, v182                               // 00000000D868: 7F6C0BB6
	v_cvt_f32_i32_e32 v183, v183                               // 00000000D86C: 7F6E0BB7
	v_mul_f32_e32 v176, v44, v176                              // 00000000D870: 0B61612C
	v_mul_f32_e32 v177, v44, v177                              // 00000000D874: 0B63632C
	v_mul_f32_e32 v178, v44, v178                              // 00000000D878: 0B65652C
	v_mul_f32_e32 v179, v44, v179                              // 00000000D87C: 0B67672C
	v_mul_f32_e32 v180, v44, v180                              // 00000000D880: 0B69692C
	v_mul_f32_e32 v181, v44, v181                              // 00000000D884: 0B6B6B2C
	v_mul_f32_e32 v182, v44, v182                              // 00000000D888: 0B6D6D2C
	v_mul_f32_e32 v183, v44, v183                              // 00000000D88C: 0B6F6F2C
	s_waitcnt lgkmcnt(0)                                       // 00000000D890: BF8CC07F
	v_max3_f32 v48, v64, v65, v48                              // 00000000D894: D1D30030 04C28340
	v_max3_f32 v48, v66, v67, v48                              // 00000000D89C: D1D30030 04C28742
	v_max3_f32 v48, v68, v69, v48                              // 00000000D8A4: D1D30030 04C28B44
	v_max3_f32 v48, v70, v71, v48                              // 00000000D8AC: D1D30030 04C28F46
	v_max3_f32 v48, v72, v73, v48                              // 00000000D8B4: D1D30030 04C29348
	v_max3_f32 v48, v74, v75, v48                              // 00000000D8BC: D1D30030 04C2974A
	v_max3_f32 v48, v76, v77, v48                              // 00000000D8C4: D1D30030 04C29B4C
	v_max3_f32 v48, v78, v79, v48                              // 00000000D8CC: D1D30030 04C29F4E
	v_mov_b32_e32 v64, 0xff800000                              // 00000000D8D4: 7E8002FF FF800000
	v_cmp_eq_u32_e64 s[40:41], v64, v11                        // 00000000D8DC: D0CA0028 00021740
	s_nop 1                                                    // 00000000D8E4: BF800001
	v_max_f32_e32 v15, v48, v11                                // 00000000D8E8: 161E1730
	v_mul_f32_e32 v53, s64, v15                                // 00000000D8EC: 0A6A1E40
	v_fma_f32 v112, v112, s64, -v53                            // 00000000D8F0: D1CB0070 84D48170
	v_fma_f32 v113, v113, s64, -v53                            // 00000000D8F8: D1CB0071 84D48171
	v_fma_f32 v114, v114, s64, -v53                            // 00000000D900: D1CB0072 84D48172
	v_fma_f32 v115, v115, s64, -v53                            // 00000000D908: D1CB0073 84D48173
	v_fma_f32 v116, v116, s64, -v53                            // 00000000D910: D1CB0074 84D48174
	v_fma_f32 v117, v117, s64, -v53                            // 00000000D918: D1CB0075 84D48175
	v_fma_f32 v118, v118, s64, -v53                            // 00000000D920: D1CB0076 84D48176
	v_fma_f32 v119, v119, s64, -v53                            // 00000000D928: D1CB0077 84D48177
	v_fma_f32 v120, v120, s64, -v53                            // 00000000D930: D1CB0078 84D48178
	v_fma_f32 v121, v121, s64, -v53                            // 00000000D938: D1CB0079 84D48179
	v_fma_f32 v122, v122, s64, -v53                            // 00000000D940: D1CB007A 84D4817A
	v_fma_f32 v123, v123, s64, -v53                            // 00000000D948: D1CB007B 84D4817B
	v_fma_f32 v124, v124, s64, -v53                            // 00000000D950: D1CB007C 84D4817C
	v_fma_f32 v125, v125, s64, -v53                            // 00000000D958: D1CB007D 84D4817D
	v_fma_f32 v126, v126, s64, -v53                            // 00000000D960: D1CB007E 84D4817E
	v_fma_f32 v127, v127, s64, -v53                            // 00000000D968: D1CB007F 84D4817F
	v_exp_f32_e32 v112, v112                                   // 00000000D970: 7EE04170
	v_exp_f32_e32 v113, v113                                   // 00000000D974: 7EE24171
	v_exp_f32_e32 v114, v114                                   // 00000000D978: 7EE44172
	v_exp_f32_e32 v115, v115                                   // 00000000D97C: 7EE64173
	v_exp_f32_e32 v116, v116                                   // 00000000D980: 7EE84174
	v_exp_f32_e32 v117, v117                                   // 00000000D984: 7EEA4175
	v_exp_f32_e32 v118, v118                                   // 00000000D988: 7EEC4176
	v_exp_f32_e32 v119, v119                                   // 00000000D98C: 7EEE4177
	v_exp_f32_e32 v120, v120                                   // 00000000D990: 7EF04178
	v_exp_f32_e32 v121, v121                                   // 00000000D994: 7EF24179
	v_exp_f32_e32 v122, v122                                   // 00000000D998: 7EF4417A
	v_exp_f32_e32 v123, v123                                   // 00000000D99C: 7EF6417B
	v_exp_f32_e32 v124, v124                                   // 00000000D9A0: 7EF8417C
	v_exp_f32_e32 v125, v125                                   // 00000000D9A4: 7EFA417D
	v_exp_f32_e32 v126, v126                                   // 00000000D9A8: 7EFC417E
	v_exp_f32_e32 v127, v127                                   // 00000000D9AC: 7EFE417F
	v_mul_f32_dpp v240, v252, v112 quad_perm:[0,0,0,0] row_mask:0xf bank_mask:0xf// 00000000D9B0: 0BE0E0FA FF0000FC
	v_mul_f32_dpp v241, v252, v113 quad_perm:[1,1,1,1] row_mask:0xf bank_mask:0xf// 00000000D9B8: 0BE2E2FA FF0055FC
	v_mul_f32_dpp v242, v252, v114 quad_perm:[2,2,2,2] row_mask:0xf bank_mask:0xf// 00000000D9C0: 0BE4E4FA FF00AAFC
	v_mul_f32_dpp v243, v252, v115 quad_perm:[3,3,3,3] row_mask:0xf bank_mask:0xf// 00000000D9C8: 0BE6E6FA FF00FFFC
	v_mul_f32_dpp v244, v253, v116 quad_perm:[0,0,0,0] row_mask:0xf bank_mask:0xf// 00000000D9D0: 0BE8E8FA FF0000FD
	v_mul_f32_dpp v245, v253, v117 quad_perm:[1,1,1,1] row_mask:0xf bank_mask:0xf// 00000000D9D8: 0BEAEAFA FF0055FD
	v_mul_f32_dpp v246, v253, v118 quad_perm:[2,2,2,2] row_mask:0xf bank_mask:0xf// 00000000D9E0: 0BECECFA FF00AAFD
	v_mul_f32_dpp v247, v253, v119 quad_perm:[3,3,3,3] row_mask:0xf bank_mask:0xf// 00000000D9E8: 0BEEEEFA FF00FFFD
	v_mul_f32_dpp v248, v254, v120 quad_perm:[0,0,0,0] row_mask:0xf bank_mask:0xf// 00000000D9F0: 0BF0F0FA FF0000FE
	v_mul_f32_dpp v249, v254, v121 quad_perm:[1,1,1,1] row_mask:0xf bank_mask:0xf// 00000000D9F8: 0BF2F2FA FF0055FE
	v_mul_f32_dpp v250, v254, v122 quad_perm:[2,2,2,2] row_mask:0xf bank_mask:0xf// 00000000DA00: 0BF4F4FA FF00AAFE
	v_mul_f32_dpp v251, v254, v123 quad_perm:[3,3,3,3] row_mask:0xf bank_mask:0xf// 00000000DA08: 0BF6F6FA FF00FFFE
	v_mul_f32_dpp v252, v255, v124 quad_perm:[0,0,0,0] row_mask:0xf bank_mask:0xf// 00000000DA10: 0BF8F8FA FF0000FF
	v_mul_f32_dpp v253, v255, v125 quad_perm:[1,1,1,1] row_mask:0xf bank_mask:0xf// 00000000DA18: 0BFAFAFA FF0055FF
	v_mul_f32_dpp v254, v255, v126 quad_perm:[2,2,2,2] row_mask:0xf bank_mask:0xf// 00000000DA20: 0BFCFCFA FF00AAFF
	v_mul_f32_dpp v255, v255, v127 quad_perm:[3,3,3,3] row_mask:0xf bank_mask:0xf// 00000000DA28: 0BFEFEFA FF00FFFF
	v_mov_b32_e32 v48, 0x358637bd                              // 00000000DA30: 7E6002FF 358637BD
	v_max3_f32 v48, |v240|, |v241|, v48                        // 00000000DA38: D1D30330 04C3E3F0
	v_max3_f32 v48, |v242|, |v243|, v48                        // 00000000DA40: D1D30330 04C3E7F2
	v_max3_f32 v48, |v244|, |v245|, v48                        // 00000000DA48: D1D30330 04C3EBF4
	v_max3_f32 v48, |v246|, |v247|, v48                        // 00000000DA50: D1D30330 04C3EFF6
	v_max3_f32 v48, |v248|, |v249|, v48                        // 00000000DA58: D1D30330 04C3F3F8
	v_max3_f32 v48, |v250|, |v251|, v48                        // 00000000DA60: D1D30330 04C3F7FA
	v_max3_f32 v48, |v252|, |v253|, v48                        // 00000000DA68: D1D30330 04C3FBFC
	v_max3_f32 v48, |v254|, |v255|, v48                        // 00000000DA70: D1D30330 04C3FFFE
	ds_write_b32 v8, v48 offset:20992                          // 00000000DA78: D81A5200 00003008
	v_sub_f32_e32 v49, v11, v15                                // 00000000DA80: 04621F0B
	v_cndmask_b32_e64 v49, v49, 0, s[40:41]                    // 00000000DA84: D1000031 00A10131
	v_mov_b32_e32 v11, v15                                     // 00000000DA8C: 7E16030F
	v_mul_f32_e32 v49, s64, v49                                // 00000000DA90: 0A626240
	v_exp_f32_e32 v49, v49                                     // 00000000DA94: 7E624131
	s_waitcnt lgkmcnt(0)                                       // 00000000DA98: BF8CC07F
	s_barrier                                                  // 00000000DA9C: BF8A0000
	ds_read_b32 v64, v7 offset:20992                           // 00000000DAA0: D86C5200 40000007
	ds_read_b32 v65, v7 offset:21056                           // 00000000DAA8: D86C5240 41000007
	ds_read_b32 v66, v7 offset:21120                           // 00000000DAB0: D86C5280 42000007
	ds_read_b32 v67, v7 offset:21184                           // 00000000DAB8: D86C52C0 43000007
	ds_read_b32 v68, v7 offset:21248                           // 00000000DAC0: D86C5300 44000007
	ds_read_b32 v69, v7 offset:21312                           // 00000000DAC8: D86C5340 45000007
	ds_read_b32 v70, v7 offset:21376                           // 00000000DAD0: D86C5380 46000007
	ds_read_b32 v71, v7 offset:21440                           // 00000000DAD8: D86C53C0 47000007
	ds_read_b32 v72, v7 offset:21504                           // 00000000DAE0: D86C5400 48000007
	ds_read_b32 v73, v7 offset:21568                           // 00000000DAE8: D86C5440 49000007
	ds_read_b32 v74, v7 offset:21632                           // 00000000DAF0: D86C5480 4A000007
	ds_read_b32 v75, v7 offset:21696                           // 00000000DAF8: D86C54C0 4B000007
	ds_read_b32 v76, v7 offset:21760                           // 00000000DB00: D86C5500 4C000007
	ds_read_b32 v77, v7 offset:21824                           // 00000000DB08: D86C5540 4D000007
	ds_read_b32 v78, v7 offset:21888                           // 00000000DB10: D86C5580 4E000007
	ds_read_b32 v79, v7 offset:21952                           // 00000000DB18: D86C55C0 4F000007
	v_mul_f32_e32 v38, v49, v38                                // 00000000DB20: 0A4C4D31
	v_mov_b32_e32 v15, v112                                    // 00000000DB24: 7E1E0370
	v_add_f32_e32 v15, v113, v15                               // 00000000DB28: 021E1F71
	v_add_f32_e32 v15, v114, v15                               // 00000000DB2C: 021E1F72
	v_add_f32_e32 v15, v115, v15                               // 00000000DB30: 021E1F73
	v_add_f32_e32 v15, v116, v15                               // 00000000DB34: 021E1F74
	v_add_f32_e32 v15, v117, v15                               // 00000000DB38: 021E1F75
	v_add_f32_e32 v15, v118, v15                               // 00000000DB3C: 021E1F76
	v_add_f32_e32 v15, v119, v15                               // 00000000DB40: 021E1F77
	v_add_f32_e32 v15, v120, v15                               // 00000000DB44: 021E1F78
	v_add_f32_e32 v15, v121, v15                               // 00000000DB48: 021E1F79
	v_add_f32_e32 v15, v122, v15                               // 00000000DB4C: 021E1F7A
	v_add_f32_e32 v15, v123, v15                               // 00000000DB50: 021E1F7B
	v_add_f32_e32 v15, v124, v15                               // 00000000DB54: 021E1F7C
	v_add_f32_e32 v15, v125, v15                               // 00000000DB58: 021E1F7D
	v_add_f32_e32 v15, v126, v15                               // 00000000DB5C: 021E1F7E
	v_add_f32_e32 v15, v127, v15                               // 00000000DB60: 021E1F7F
	v_add_f32_e32 v38, v15, v38                                // 00000000DB64: 024C4D0F
	s_waitcnt lgkmcnt(0)                                       // 00000000DB68: BF8CC07F
	v_max3_f32 v48, |v64|, |v65|, v48                          // 00000000DB6C: D1D30330 04C28340
	v_max3_f32 v48, |v66|, |v67|, v48                          // 00000000DB74: D1D30330 04C28742
	v_max3_f32 v48, |v68|, |v69|, v48                          // 00000000DB7C: D1D30330 04C28B44
	v_max3_f32 v48, |v70|, |v71|, v48                          // 00000000DB84: D1D30330 04C28F46
	v_max3_f32 v48, |v72|, |v73|, v48                          // 00000000DB8C: D1D30330 04C29348
	v_max3_f32 v48, |v74|, |v75|, v48                          // 00000000DB94: D1D30330 04C2974A
	v_max3_f32 v48, |v76|, |v77|, v48                          // 00000000DB9C: D1D30330 04C29B4C
	v_max3_f32 v48, |v78|, |v79|, v48                          // 00000000DBA4: D1D30330 04C29F4E
	s_nop 2                                                    // 00000000DBAC: BF800002
	v_rcp_f32_e32 v48, v48                                     // 00000000DBB0: 7E604530
	s_nop 1                                                    // 00000000DBB4: BF800001
	v_mul_f32_e32 v48, 0x42fe0000, v48                         // 00000000DBB8: 0A6060FF 42FE0000
	v_mul_f32_e32 v112, v48, v240                              // 00000000DBC0: 0AE1E130
	v_mul_f32_e32 v113, v48, v241                              // 00000000DBC4: 0AE3E330
	v_mul_f32_e32 v114, v48, v242                              // 00000000DBC8: 0AE5E530
	v_mul_f32_e32 v115, v48, v243                              // 00000000DBCC: 0AE7E730
	v_mul_f32_e32 v116, v48, v244                              // 00000000DBD0: 0AE9E930
	v_mul_f32_e32 v117, v48, v245                              // 00000000DBD4: 0AEBEB30
	v_mul_f32_e32 v118, v48, v246                              // 00000000DBD8: 0AEDED30
	v_mul_f32_e32 v119, v48, v247                              // 00000000DBDC: 0AEFEF30
	v_mul_f32_e32 v120, v48, v248                              // 00000000DBE0: 0AF1F130
	v_mul_f32_e32 v121, v48, v249                              // 00000000DBE4: 0AF3F330
	v_mul_f32_e32 v122, v48, v250                              // 00000000DBE8: 0AF5F530
	v_mul_f32_e32 v123, v48, v251                              // 00000000DBEC: 0AF7F730
	v_mul_f32_e32 v124, v48, v252                              // 00000000DBF0: 0AF9F930
	v_mul_f32_e32 v125, v48, v253                              // 00000000DBF4: 0AFBFB30
	v_mul_f32_e32 v126, v48, v254                              // 00000000DBF8: 0AFDFD30
	v_mul_f32_e32 v127, v48, v255                              // 00000000DBFC: 0AFFFF30
	v_cvt_i32_f32_e32 v112, v112                               // 00000000DC00: 7EE01170
	v_cvt_i32_f32_e32 v113, v113                               // 00000000DC04: 7EE21171
	v_cvt_i32_f32_e32 v114, v114                               // 00000000DC08: 7EE41172
	v_cvt_i32_f32_e32 v115, v115                               // 00000000DC0C: 7EE61173
	v_cvt_i32_f32_e32 v116, v116                               // 00000000DC10: 7EE81174
	v_cvt_i32_f32_e32 v117, v117                               // 00000000DC14: 7EEA1175
	v_cvt_i32_f32_e32 v118, v118                               // 00000000DC18: 7EEC1176
	v_cvt_i32_f32_e32 v119, v119                               // 00000000DC1C: 7EEE1177
	v_cvt_i32_f32_e32 v120, v120                               // 00000000DC20: 7EF01178
	v_cvt_i32_f32_e32 v121, v121                               // 00000000DC24: 7EF21179
	v_cvt_i32_f32_e32 v122, v122                               // 00000000DC28: 7EF4117A
	v_cvt_i32_f32_e32 v123, v123                               // 00000000DC2C: 7EF6117B
	v_cvt_i32_f32_e32 v124, v124                               // 00000000DC30: 7EF8117C
	v_cvt_i32_f32_e32 v125, v125                               // 00000000DC34: 7EFA117D
	v_cvt_i32_f32_e32 v126, v126                               // 00000000DC38: 7EFC117E
	v_cvt_i32_f32_e32 v127, v127                               // 00000000DC3C: 7EFE117F
	v_perm_b32 v112, v113, v112, s53                           // 00000000DC40: D1ED0070 00D6E171
	v_perm_b32 v112, v114, v112, s54                           // 00000000DC48: D1ED0070 00DAE172
	v_perm_b32 v112, v115, v112, s55                           // 00000000DC50: D1ED0070 00DEE173
	v_perm_b32 v113, v117, v116, s53                           // 00000000DC58: D1ED0071 00D6E975
	v_perm_b32 v113, v118, v113, s54                           // 00000000DC60: D1ED0071 00DAE376
	v_perm_b32 v113, v119, v113, s55                           // 00000000DC68: D1ED0071 00DEE377
	v_perm_b32 v114, v121, v120, s53                           // 00000000DC70: D1ED0072 00D6F179
	v_perm_b32 v114, v122, v114, s54                           // 00000000DC78: D1ED0072 00DAE57A
	v_perm_b32 v114, v123, v114, s55                           // 00000000DC80: D1ED0072 00DEE57B
	v_perm_b32 v115, v125, v124, s53                           // 00000000DC88: D1ED0073 00D6F97D
	v_perm_b32 v115, v126, v115, s54                           // 00000000DC90: D1ED0073 00DAE77E
	v_perm_b32 v115, v127, v115, s55                           // 00000000DC98: D1ED0073 00DEE77F
	ds_write_b32 v10, v112 offset:25088                        // 00000000DCA0: D81A6200 0000700A
	ds_write_b32 v10, v113 offset:26112                        // 00000000DCA8: D81A6600 0000710A
	ds_write_b32 v10, v114 offset:27136                        // 00000000DCB0: D81A6A00 0000720A
	ds_write_b32 v10, v115 offset:28160                        // 00000000DCB8: D81A6E00 0000730A
	v_add_f32_e32 v208, v208, v176                             // 00000000DCC0: 03A161D0
	v_add_f32_e32 v209, v209, v177                             // 00000000DCC4: 03A363D1
	v_add_f32_e32 v210, v210, v178                             // 00000000DCC8: 03A565D2
	v_add_f32_e32 v211, v211, v179                             // 00000000DCCC: 03A767D3
	v_add_f32_e32 v212, v212, v180                             // 00000000DCD0: 03A969D4
	v_add_f32_e32 v213, v213, v181                             // 00000000DCD4: 03AB6BD5
	v_add_f32_e32 v214, v214, v182                             // 00000000DCD8: 03AD6DD6
	v_add_f32_e32 v215, v215, v183                             // 00000000DCDC: 03AF6FD7
	v_rcp_f32_e32 v44, v48                                     // 00000000DCE0: 7E584530
	s_waitcnt lgkmcnt(0)                                       // 00000000DCE4: BF8CC07F
	s_barrier                                                  // 00000000DCE8: BF8A0000
	ds_read_b64 v[112:113], v9 offset:25088                    // 00000000DCEC: D8EC6200 70000009
	ds_read_b64 v[114:115], v9 offset:25216                    // 00000000DCF4: D8EC6280 72000009
	ds_read_b64 v[116:117], v9 offset:26112                    // 00000000DCFC: D8EC6600 74000009
	ds_read_b64 v[118:119], v9 offset:26240                    // 00000000DD04: D8EC6680 76000009
	ds_read_b64 v[120:121], v9 offset:27136                    // 00000000DD0C: D8EC6A00 78000009
	ds_read_b64 v[122:123], v9 offset:27264                    // 00000000DD14: D8EC6A80 7A000009
	ds_read_b64 v[124:125], v9 offset:28160                    // 00000000DD1C: D8EC6E00 7C000009
	ds_read_b64 v[126:127], v9 offset:28288                    // 00000000DD24: D8EC6E80 7E000009
	v_mov_b32_dpp v64, v43 row_shr:4 row_mask:0xf bank_mask:0xf// 00000000DD2C: 7E8002FA FF01142B
	v_mov_b32_dpp v65, v43 row_shl:4 row_mask:0xf bank_mask:0xf// 00000000DD34: 7E8202FA FF01042B
	v_cndmask_b32_e64 v248, v43, v64, s[44:45]                 // 00000000DD3C: D10000F8 00B2812B
	v_cndmask_b32_e64 v249, v65, v43, s[44:45]                 // 00000000DD44: D10000F9 00B25741
	v_mov_b32_dpp v64, v248 row_shr:8 row_mask:0xf bank_mask:0xf// 00000000DD4C: 7E8002FA FF0118F8
	v_mov_b32_dpp v65, v248 row_shl:8 row_mask:0xf bank_mask:0xf// 00000000DD54: 7E8202FA FF0108F8
	v_mov_b32_dpp v66, v249 row_shr:8 row_mask:0xf bank_mask:0xf// 00000000DD5C: 7E8402FA FF0118F9
	v_mov_b32_dpp v67, v249 row_shl:8 row_mask:0xf bank_mask:0xf// 00000000DD64: 7E8602FA FF0108F9
	v_mov_b32_e32 v68, v248                                    // 00000000DD6C: 7E8803F8
	v_mov_b32_e32 v69, v249                                    // 00000000DD70: 7E8A03F9
	v_cndmask_b32_e64 v248, v68, v64, s[42:43]                 // 00000000DD74: D10000F8 00AA8144
	v_cndmask_b32_e64 v250, v68, v65, s[78:79]                 // 00000000DD7C: D10000FA 013A8344
	v_cndmask_b32_e64 v249, v69, v66, s[42:43]                 // 00000000DD84: D10000F9 00AA8545
	v_cndmask_b32_e64 v251, v69, v67, s[78:79]                 // 00000000DD8C: D10000FB 013A8745
	v_mov_b32_dpp v64, v58 row_shr:4 row_mask:0xf bank_mask:0xf// 00000000DD94: 7E8002FA FF01143A
	v_mov_b32_dpp v65, v58 row_shl:4 row_mask:0xf bank_mask:0xf// 00000000DD9C: 7E8202FA FF01043A
	v_cndmask_b32_e64 v252, v58, v64, s[44:45]                 // 00000000DDA4: D10000FC 00B2813A
	v_cndmask_b32_e64 v253, v65, v58, s[44:45]                 // 00000000DDAC: D10000FD 00B27541
	v_mov_b32_dpp v64, v252 row_shr:8 row_mask:0xf bank_mask:0xf// 00000000DDB4: 7E8002FA FF0118FC
	v_mov_b32_dpp v65, v252 row_shl:8 row_mask:0xf bank_mask:0xf// 00000000DDBC: 7E8202FA FF0108FC
	v_mov_b32_dpp v66, v253 row_shr:8 row_mask:0xf bank_mask:0xf// 00000000DDC4: 7E8402FA FF0118FD
	v_mov_b32_dpp v67, v253 row_shl:8 row_mask:0xf bank_mask:0xf// 00000000DDCC: 7E8602FA FF0108FD
	v_mov_b32_e32 v68, v252                                    // 00000000DDD4: 7E8803FC
	v_mov_b32_e32 v69, v253                                    // 00000000DDD8: 7E8A03FD
	v_cndmask_b32_e64 v252, v68, v64, s[42:43]                 // 00000000DDDC: D10000FC 00AA8144
	v_cndmask_b32_e64 v254, v68, v65, s[78:79]                 // 00000000DDE4: D10000FE 013A8344
	v_cndmask_b32_e64 v253, v69, v66, s[42:43]                 // 00000000DDEC: D10000FD 00AA8545
	v_cndmask_b32_e64 v255, v69, v67, s[78:79]                 // 00000000DDF4: D10000FF 013A8745
	v_cvt_f32_i32_e32 v128, v128                               // 00000000DDFC: 7F000B80
	v_cvt_f32_i32_e32 v129, v129                               // 00000000DE00: 7F020B81
	v_cvt_f32_i32_e32 v130, v130                               // 00000000DE04: 7F040B82
	v_cvt_f32_i32_e32 v131, v131                               // 00000000DE08: 7F060B83
	v_cvt_f32_i32_e32 v132, v132                               // 00000000DE0C: 7F080B84
	v_cvt_f32_i32_e32 v133, v133                               // 00000000DE10: 7F0A0B85
	v_cvt_f32_i32_e32 v134, v134                               // 00000000DE14: 7F0C0B86
	v_cvt_f32_i32_e32 v135, v135                               // 00000000DE18: 7F0E0B87
	v_cvt_f32_i32_e32 v136, v136                               // 00000000DE1C: 7F100B88
	v_cvt_f32_i32_e32 v137, v137                               // 00000000DE20: 7F120B89
	v_cvt_f32_i32_e32 v138, v138                               // 00000000DE24: 7F140B8A
	v_cvt_f32_i32_e32 v139, v139                               // 00000000DE28: 7F160B8B
	v_cvt_f32_i32_e32 v140, v140                               // 00000000DE2C: 7F180B8C
	v_cvt_f32_i32_e32 v141, v141                               // 00000000DE30: 7F1A0B8D
	v_cvt_f32_i32_e32 v142, v142                               // 00000000DE34: 7F1C0B8E
	v_cvt_f32_i32_e32 v143, v143                               // 00000000DE38: 7F1E0B8F
	v_mul_f32_e32 v128, v19, v128                              // 00000000DE3C: 0B010113
	v_mul_f32_e32 v129, v19, v129                              // 00000000DE40: 0B030313
	v_mul_f32_e32 v130, v19, v130                              // 00000000DE44: 0B050513
	v_mul_f32_e32 v131, v19, v131                              // 00000000DE48: 0B070713
	v_mul_f32_e32 v132, v19, v132                              // 00000000DE4C: 0B090913
	v_mul_f32_e32 v133, v19, v133                              // 00000000DE50: 0B0B0B13
	v_mul_f32_e32 v134, v19, v134                              // 00000000DE54: 0B0D0D13
	v_mul_f32_e32 v135, v19, v135                              // 00000000DE58: 0B0F0F13
	v_mul_f32_e32 v136, v19, v136                              // 00000000DE5C: 0B111113
	v_mul_f32_e32 v137, v19, v137                              // 00000000DE60: 0B131313
	v_mul_f32_e32 v138, v19, v138                              // 00000000DE64: 0B151513
	v_mul_f32_e32 v139, v19, v139                              // 00000000DE68: 0B171713
	v_mul_f32_e32 v140, v19, v140                              // 00000000DE6C: 0B191913
	v_mul_f32_e32 v141, v19, v141                              // 00000000DE70: 0B1B1B13
	v_mul_f32_e32 v142, v19, v142                              // 00000000DE74: 0B1D1D13
	v_mul_f32_e32 v143, v19, v143                              // 00000000DE78: 0B1F1F13
	v_mul_f32_dpp v128, v248, v128 quad_perm:[0,0,0,0] row_mask:0xf bank_mask:0xf// 00000000DE7C: 0B0100FA FF0000F8
	v_mul_f32_dpp v129, v248, v129 quad_perm:[1,1,1,1] row_mask:0xf bank_mask:0xf// 00000000DE84: 0B0302FA FF0055F8
	v_mul_f32_dpp v130, v248, v130 quad_perm:[2,2,2,2] row_mask:0xf bank_mask:0xf// 00000000DE8C: 0B0504FA FF00AAF8
	v_mul_f32_dpp v131, v248, v131 quad_perm:[3,3,3,3] row_mask:0xf bank_mask:0xf// 00000000DE94: 0B0706FA FF00FFF8
	v_mul_f32_dpp v132, v249, v132 quad_perm:[0,0,0,0] row_mask:0xf bank_mask:0xf// 00000000DE9C: 0B0908FA FF0000F9
	v_mul_f32_dpp v133, v249, v133 quad_perm:[1,1,1,1] row_mask:0xf bank_mask:0xf// 00000000DEA4: 0B0B0AFA FF0055F9
	v_mul_f32_dpp v134, v249, v134 quad_perm:[2,2,2,2] row_mask:0xf bank_mask:0xf// 00000000DEAC: 0B0D0CFA FF00AAF9
	v_mul_f32_dpp v135, v249, v135 quad_perm:[3,3,3,3] row_mask:0xf bank_mask:0xf// 00000000DEB4: 0B0F0EFA FF00FFF9
	v_mul_f32_dpp v136, v250, v136 quad_perm:[0,0,0,0] row_mask:0xf bank_mask:0xf// 00000000DEBC: 0B1110FA FF0000FA
	v_mul_f32_dpp v137, v250, v137 quad_perm:[1,1,1,1] row_mask:0xf bank_mask:0xf// 00000000DEC4: 0B1312FA FF0055FA
	v_mul_f32_dpp v138, v250, v138 quad_perm:[2,2,2,2] row_mask:0xf bank_mask:0xf// 00000000DECC: 0B1514FA FF00AAFA
	v_mul_f32_dpp v139, v250, v139 quad_perm:[3,3,3,3] row_mask:0xf bank_mask:0xf// 00000000DED4: 0B1716FA FF00FFFA
	v_mul_f32_dpp v140, v251, v140 quad_perm:[0,0,0,0] row_mask:0xf bank_mask:0xf// 00000000DEDC: 0B1918FA FF0000FB
	v_mul_f32_dpp v141, v251, v141 quad_perm:[1,1,1,1] row_mask:0xf bank_mask:0xf// 00000000DEE4: 0B1B1AFA FF0055FB
	v_mul_f32_dpp v142, v251, v142 quad_perm:[2,2,2,2] row_mask:0xf bank_mask:0xf// 00000000DEEC: 0B1D1CFA FF00AAFB
	v_mul_f32_dpp v143, v251, v143 quad_perm:[3,3,3,3] row_mask:0xf bank_mask:0xf// 00000000DEF4: 0B1F1EFA FF00FFFB
	s_and_b32 s60, s72, 0xff                                   // 00000000DEFC: 863CFF48 000000FF
	v_mov_b32_e32 v65, s60                                     // 00000000DF04: 7E82023C
	v_lshrrev_b32_e32 v240, 4, v0                              // 00000000DF08: 21E00084
	v_mul_i32_i24_e32 v240, 4, v240                            // 00000000DF0C: 0DE1E084
	s_mul_i32 s60, s7, 16                                      // 00000000DF10: 923C9007
	v_add_u32_e32 v240, s60, v240                              // 00000000DF14: 69E1E03C
	v_add_u32_e32 v241, 1, v240                                // 00000000DF18: 69E3E081
	v_add_u32_e32 v242, 2, v240                                // 00000000DF1C: 69E5E082
	v_add_u32_e32 v243, 3, v240                                // 00000000DF20: 69E7E083
	v_mov_b32_e32 v64, 0xff800000                              // 00000000DF24: 7E8002FF FF800000
	v_cmp_lt_u32_e64 s[40:41], v240, v65                       // 00000000DF2C: D0C90028 000283F0
	v_add_u32_e32 v240, 64, v240                               // 00000000DF34: 69E1E0C0
	s_nop 0                                                    // 00000000DF38: BF800000
	v_cndmask_b32_e64 v128, v64, v128, s[40:41]                // 00000000DF3C: D1000080 00A30140
	v_cmp_lt_u32_e64 s[40:41], v241, v65                       // 00000000DF44: D0C90028 000283F1
	v_add_u32_e32 v241, 64, v241                               // 00000000DF4C: 69E3E2C0
	s_nop 0                                                    // 00000000DF50: BF800000
	v_cndmask_b32_e64 v129, v64, v129, s[40:41]                // 00000000DF54: D1000081 00A30340
	v_cmp_lt_u32_e64 s[40:41], v242, v65                       // 00000000DF5C: D0C90028 000283F2
	v_add_u32_e32 v242, 64, v242                               // 00000000DF64: 69E5E4C0
	s_nop 0                                                    // 00000000DF68: BF800000
	v_cndmask_b32_e64 v130, v64, v130, s[40:41]                // 00000000DF6C: D1000082 00A30540
	v_cmp_lt_u32_e64 s[40:41], v243, v65                       // 00000000DF74: D0C90028 000283F3
	v_add_u32_e32 v243, 64, v243                               // 00000000DF7C: 69E7E6C0
	s_nop 0                                                    // 00000000DF80: BF800000
	v_cndmask_b32_e64 v131, v64, v131, s[40:41]                // 00000000DF84: D1000083 00A30740
	v_cmp_lt_u32_e64 s[40:41], v240, v65                       // 00000000DF8C: D0C90028 000283F0
	v_add_u32_e32 v240, 64, v240                               // 00000000DF94: 69E1E0C0
	s_nop 0                                                    // 00000000DF98: BF800000
	v_cndmask_b32_e64 v132, v64, v132, s[40:41]                // 00000000DF9C: D1000084 00A30940
	v_cmp_lt_u32_e64 s[40:41], v241, v65                       // 00000000DFA4: D0C90028 000283F1
	v_add_u32_e32 v241, 64, v241                               // 00000000DFAC: 69E3E2C0
	s_nop 0                                                    // 00000000DFB0: BF800000
	v_cndmask_b32_e64 v133, v64, v133, s[40:41]                // 00000000DFB4: D1000085 00A30B40
	v_cmp_lt_u32_e64 s[40:41], v242, v65                       // 00000000DFBC: D0C90028 000283F2
	v_add_u32_e32 v242, 64, v242                               // 00000000DFC4: 69E5E4C0
	s_nop 0                                                    // 00000000DFC8: BF800000
	v_cndmask_b32_e64 v134, v64, v134, s[40:41]                // 00000000DFCC: D1000086 00A30D40
	v_cmp_lt_u32_e64 s[40:41], v243, v65                       // 00000000DFD4: D0C90028 000283F3
	v_add_u32_e32 v243, 64, v243                               // 00000000DFDC: 69E7E6C0
	s_nop 0                                                    // 00000000DFE0: BF800000
	v_cndmask_b32_e64 v135, v64, v135, s[40:41]                // 00000000DFE4: D1000087 00A30F40
	v_cmp_lt_u32_e64 s[40:41], v240, v65                       // 00000000DFEC: D0C90028 000283F0
	v_add_u32_e32 v240, 64, v240                               // 00000000DFF4: 69E1E0C0
	s_nop 0                                                    // 00000000DFF8: BF800000
	v_cndmask_b32_e64 v136, v64, v136, s[40:41]                // 00000000DFFC: D1000088 00A31140
	v_cmp_lt_u32_e64 s[40:41], v241, v65                       // 00000000E004: D0C90028 000283F1
	v_add_u32_e32 v241, 64, v241                               // 00000000E00C: 69E3E2C0
	s_nop 0                                                    // 00000000E010: BF800000
	v_cndmask_b32_e64 v137, v64, v137, s[40:41]                // 00000000E014: D1000089 00A31340
	v_cmp_lt_u32_e64 s[40:41], v242, v65                       // 00000000E01C: D0C90028 000283F2
	v_add_u32_e32 v242, 64, v242                               // 00000000E024: 69E5E4C0
	s_nop 0                                                    // 00000000E028: BF800000
	v_cndmask_b32_e64 v138, v64, v138, s[40:41]                // 00000000E02C: D100008A 00A31540
	v_cmp_lt_u32_e64 s[40:41], v243, v65                       // 00000000E034: D0C90028 000283F3
	v_add_u32_e32 v243, 64, v243                               // 00000000E03C: 69E7E6C0
	s_nop 0                                                    // 00000000E040: BF800000
	v_cndmask_b32_e64 v139, v64, v139, s[40:41]                // 00000000E044: D100008B 00A31740
	v_cmp_lt_u32_e64 s[40:41], v240, v65                       // 00000000E04C: D0C90028 000283F0
	v_add_u32_e32 v240, 64, v240                               // 00000000E054: 69E1E0C0
	s_nop 0                                                    // 00000000E058: BF800000
	v_cndmask_b32_e64 v140, v64, v140, s[40:41]                // 00000000E05C: D100008C 00A31940
	v_cmp_lt_u32_e64 s[40:41], v241, v65                       // 00000000E064: D0C90028 000283F1
	v_add_u32_e32 v241, 64, v241                               // 00000000E06C: 69E3E2C0
	s_nop 0                                                    // 00000000E070: BF800000
	v_cndmask_b32_e64 v141, v64, v141, s[40:41]                // 00000000E074: D100008D 00A31B40
	v_cmp_lt_u32_e64 s[40:41], v242, v65                       // 00000000E07C: D0C90028 000283F2
	v_add_u32_e32 v242, 64, v242                               // 00000000E084: 69E5E4C0
	s_nop 0                                                    // 00000000E088: BF800000
	v_cndmask_b32_e64 v142, v64, v142, s[40:41]                // 00000000E08C: D100008E 00A31D40
	v_cmp_lt_u32_e64 s[40:41], v243, v65                       // 00000000E094: D0C90028 000283F3
	v_add_u32_e32 v243, 64, v243                               // 00000000E09C: 69E7E6C0
	s_nop 0                                                    // 00000000E0A0: BF800000
	v_cndmask_b32_e64 v143, v64, v143, s[40:41]                // 00000000E0A4: D100008F 00A31F40
	v_mov_b32_e32 v48, v128                                    // 00000000E0AC: 7E600380
	v_max3_f32 v48, v128, v129, v48                            // 00000000E0B0: D1D30030 04C30380
	v_max3_f32 v48, v130, v131, v48                            // 00000000E0B8: D1D30030 04C30782
	v_max3_f32 v48, v132, v133, v48                            // 00000000E0C0: D1D30030 04C30B84
	v_max3_f32 v48, v134, v135, v48                            // 00000000E0C8: D1D30030 04C30F86
	v_max3_f32 v48, v136, v137, v48                            // 00000000E0D0: D1D30030 04C31388
	v_max3_f32 v48, v138, v139, v48                            // 00000000E0D8: D1D30030 04C3178A
	v_max3_f32 v48, v140, v141, v48                            // 00000000E0E0: D1D30030 04C31B8C
	v_max3_f32 v48, v142, v143, v48                            // 00000000E0E8: D1D30030 04C31F8E
	ds_write_b32 v8, v48 offset:16896                          // 00000000E0F0: D81A4200 00003008
	v_mul_f32_e32 v216, v50, v216                              // 00000000E0F8: 0BB1B132
	v_mul_f32_e32 v217, v50, v217                              // 00000000E0FC: 0BB3B332
	v_mul_f32_e32 v218, v50, v218                              // 00000000E100: 0BB5B532
	v_mul_f32_e32 v219, v50, v219                              // 00000000E104: 0BB7B732
	v_mul_f32_e32 v220, v50, v220                              // 00000000E108: 0BB9B932
	v_mul_f32_e32 v221, v50, v221                              // 00000000E10C: 0BBBBB32
	v_mul_f32_e32 v222, v50, v222                              // 00000000E110: 0BBDBD32
	v_mul_f32_e32 v223, v50, v223                              // 00000000E114: 0BBFBF32
	s_waitcnt lgkmcnt(0)                                       // 00000000E118: BF8CC07F
	s_barrier                                                  // 00000000E11C: BF8A0000
	ds_read_b32 v64, v7 offset:16896                           // 00000000E120: D86C4200 40000007
	ds_read_b32 v65, v7 offset:16960                           // 00000000E128: D86C4240 41000007
	ds_read_b32 v66, v7 offset:17024                           // 00000000E130: D86C4280 42000007
	ds_read_b32 v67, v7 offset:17088                           // 00000000E138: D86C42C0 43000007
	ds_read_b32 v68, v7 offset:17152                           // 00000000E140: D86C4300 44000007
	ds_read_b32 v69, v7 offset:17216                           // 00000000E148: D86C4340 45000007
	ds_read_b32 v70, v7 offset:17280                           // 00000000E150: D86C4380 46000007
	ds_read_b32 v71, v7 offset:17344                           // 00000000E158: D86C43C0 47000007
	ds_read_b32 v72, v7 offset:17408                           // 00000000E160: D86C4400 48000007
	ds_read_b32 v73, v7 offset:17472                           // 00000000E168: D86C4440 49000007
	ds_read_b32 v74, v7 offset:17536                           // 00000000E170: D86C4480 4A000007
	ds_read_b32 v75, v7 offset:17600                           // 00000000E178: D86C44C0 4B000007
	ds_read_b32 v76, v7 offset:17664                           // 00000000E180: D86C4500 4C000007
	ds_read_b32 v77, v7 offset:17728                           // 00000000E188: D86C4540 4D000007
	ds_read_b32 v78, v7 offset:17792                           // 00000000E190: D86C4580 4E000007
	ds_read_b32 v79, v7 offset:17856                           // 00000000E198: D86C45C0 4F000007
	v_cvt_f32_i32_e32 v184, v184                               // 00000000E1A0: 7F700BB8
	v_cvt_f32_i32_e32 v185, v185                               // 00000000E1A4: 7F720BB9
	v_cvt_f32_i32_e32 v186, v186                               // 00000000E1A8: 7F740BBA
	v_cvt_f32_i32_e32 v187, v187                               // 00000000E1AC: 7F760BBB
	v_cvt_f32_i32_e32 v188, v188                               // 00000000E1B0: 7F780BBC
	v_cvt_f32_i32_e32 v189, v189                               // 00000000E1B4: 7F7A0BBD
	v_cvt_f32_i32_e32 v190, v190                               // 00000000E1B8: 7F7C0BBE
	v_cvt_f32_i32_e32 v191, v191                               // 00000000E1BC: 7F7E0BBF
	v_mul_f32_e32 v184, v45, v184                              // 00000000E1C0: 0B71712D
	v_mul_f32_e32 v185, v45, v185                              // 00000000E1C4: 0B73732D
	v_mul_f32_e32 v186, v45, v186                              // 00000000E1C8: 0B75752D
	v_mul_f32_e32 v187, v45, v187                              // 00000000E1CC: 0B77772D
	v_mul_f32_e32 v188, v45, v188                              // 00000000E1D0: 0B79792D
	v_mul_f32_e32 v189, v45, v189                              // 00000000E1D4: 0B7B7B2D
	v_mul_f32_e32 v190, v45, v190                              // 00000000E1D8: 0B7D7D2D
	v_mul_f32_e32 v191, v45, v191                              // 00000000E1DC: 0B7F7F2D
	s_waitcnt lgkmcnt(0)                                       // 00000000E1E0: BF8CC07F
	v_max3_f32 v48, v64, v65, v48                              // 00000000E1E4: D1D30030 04C28340
	v_max3_f32 v48, v66, v67, v48                              // 00000000E1EC: D1D30030 04C28742
	v_max3_f32 v48, v68, v69, v48                              // 00000000E1F4: D1D30030 04C28B44
	v_max3_f32 v48, v70, v71, v48                              // 00000000E1FC: D1D30030 04C28F46
	v_max3_f32 v48, v72, v73, v48                              // 00000000E204: D1D30030 04C29348
	v_max3_f32 v48, v74, v75, v48                              // 00000000E20C: D1D30030 04C2974A
	v_max3_f32 v48, v76, v77, v48                              // 00000000E214: D1D30030 04C29B4C
	v_max3_f32 v48, v78, v79, v48                              // 00000000E21C: D1D30030 04C29F4E
	v_mov_b32_e32 v64, 0xff800000                              // 00000000E224: 7E8002FF FF800000
	v_cmp_eq_u32_e64 s[40:41], v64, v12                        // 00000000E22C: D0CA0028 00021940
	s_nop 1                                                    // 00000000E234: BF800001
	v_max_f32_e32 v15, v48, v12                                // 00000000E238: 161E1930
	v_mul_f32_e32 v53, s64, v15                                // 00000000E23C: 0A6A1E40
	v_fma_f32 v128, v128, s64, -v53                            // 00000000E240: D1CB0080 84D48180
	v_fma_f32 v129, v129, s64, -v53                            // 00000000E248: D1CB0081 84D48181
	v_fma_f32 v130, v130, s64, -v53                            // 00000000E250: D1CB0082 84D48182
	v_fma_f32 v131, v131, s64, -v53                            // 00000000E258: D1CB0083 84D48183
	v_fma_f32 v132, v132, s64, -v53                            // 00000000E260: D1CB0084 84D48184
	v_fma_f32 v133, v133, s64, -v53                            // 00000000E268: D1CB0085 84D48185
	v_fma_f32 v134, v134, s64, -v53                            // 00000000E270: D1CB0086 84D48186
	v_fma_f32 v135, v135, s64, -v53                            // 00000000E278: D1CB0087 84D48187
	v_fma_f32 v136, v136, s64, -v53                            // 00000000E280: D1CB0088 84D48188
	v_fma_f32 v137, v137, s64, -v53                            // 00000000E288: D1CB0089 84D48189
	v_fma_f32 v138, v138, s64, -v53                            // 00000000E290: D1CB008A 84D4818A
	v_fma_f32 v139, v139, s64, -v53                            // 00000000E298: D1CB008B 84D4818B
	v_fma_f32 v140, v140, s64, -v53                            // 00000000E2A0: D1CB008C 84D4818C
	v_fma_f32 v141, v141, s64, -v53                            // 00000000E2A8: D1CB008D 84D4818D
	v_fma_f32 v142, v142, s64, -v53                            // 00000000E2B0: D1CB008E 84D4818E
	v_fma_f32 v143, v143, s64, -v53                            // 00000000E2B8: D1CB008F 84D4818F
	v_exp_f32_e32 v128, v128                                   // 00000000E2C0: 7F004180
	v_exp_f32_e32 v129, v129                                   // 00000000E2C4: 7F024181
	v_exp_f32_e32 v130, v130                                   // 00000000E2C8: 7F044182
	v_exp_f32_e32 v131, v131                                   // 00000000E2CC: 7F064183
	v_exp_f32_e32 v132, v132                                   // 00000000E2D0: 7F084184
	v_exp_f32_e32 v133, v133                                   // 00000000E2D4: 7F0A4185
	v_exp_f32_e32 v134, v134                                   // 00000000E2D8: 7F0C4186
	v_exp_f32_e32 v135, v135                                   // 00000000E2DC: 7F0E4187
	v_exp_f32_e32 v136, v136                                   // 00000000E2E0: 7F104188
	v_exp_f32_e32 v137, v137                                   // 00000000E2E4: 7F124189
	v_exp_f32_e32 v138, v138                                   // 00000000E2E8: 7F14418A
	v_exp_f32_e32 v139, v139                                   // 00000000E2EC: 7F16418B
	v_exp_f32_e32 v140, v140                                   // 00000000E2F0: 7F18418C
	v_exp_f32_e32 v141, v141                                   // 00000000E2F4: 7F1A418D
	v_exp_f32_e32 v142, v142                                   // 00000000E2F8: 7F1C418E
	v_exp_f32_e32 v143, v143                                   // 00000000E2FC: 7F1E418F
	v_mul_f32_dpp v240, v252, v128 quad_perm:[0,0,0,0] row_mask:0xf bank_mask:0xf// 00000000E300: 0BE100FA FF0000FC
	v_mul_f32_dpp v241, v252, v129 quad_perm:[1,1,1,1] row_mask:0xf bank_mask:0xf// 00000000E308: 0BE302FA FF0055FC
	v_mul_f32_dpp v242, v252, v130 quad_perm:[2,2,2,2] row_mask:0xf bank_mask:0xf// 00000000E310: 0BE504FA FF00AAFC
	v_mul_f32_dpp v243, v252, v131 quad_perm:[3,3,3,3] row_mask:0xf bank_mask:0xf// 00000000E318: 0BE706FA FF00FFFC
	v_mul_f32_dpp v244, v253, v132 quad_perm:[0,0,0,0] row_mask:0xf bank_mask:0xf// 00000000E320: 0BE908FA FF0000FD
	v_mul_f32_dpp v245, v253, v133 quad_perm:[1,1,1,1] row_mask:0xf bank_mask:0xf// 00000000E328: 0BEB0AFA FF0055FD
	v_mul_f32_dpp v246, v253, v134 quad_perm:[2,2,2,2] row_mask:0xf bank_mask:0xf// 00000000E330: 0BED0CFA FF00AAFD
	v_mul_f32_dpp v247, v253, v135 quad_perm:[3,3,3,3] row_mask:0xf bank_mask:0xf// 00000000E338: 0BEF0EFA FF00FFFD
	v_mul_f32_dpp v248, v254, v136 quad_perm:[0,0,0,0] row_mask:0xf bank_mask:0xf// 00000000E340: 0BF110FA FF0000FE
	v_mul_f32_dpp v249, v254, v137 quad_perm:[1,1,1,1] row_mask:0xf bank_mask:0xf// 00000000E348: 0BF312FA FF0055FE
	v_mul_f32_dpp v250, v254, v138 quad_perm:[2,2,2,2] row_mask:0xf bank_mask:0xf// 00000000E350: 0BF514FA FF00AAFE
	v_mul_f32_dpp v251, v254, v139 quad_perm:[3,3,3,3] row_mask:0xf bank_mask:0xf// 00000000E358: 0BF716FA FF00FFFE
	v_mul_f32_dpp v252, v255, v140 quad_perm:[0,0,0,0] row_mask:0xf bank_mask:0xf// 00000000E360: 0BF918FA FF0000FF
	v_mul_f32_dpp v253, v255, v141 quad_perm:[1,1,1,1] row_mask:0xf bank_mask:0xf// 00000000E368: 0BFB1AFA FF0055FF
	v_mul_f32_dpp v254, v255, v142 quad_perm:[2,2,2,2] row_mask:0xf bank_mask:0xf// 00000000E370: 0BFD1CFA FF00AAFF
	v_mul_f32_dpp v255, v255, v143 quad_perm:[3,3,3,3] row_mask:0xf bank_mask:0xf// 00000000E378: 0BFF1EFA FF00FFFF
	v_mov_b32_e32 v48, 0x358637bd                              // 00000000E380: 7E6002FF 358637BD
	v_max3_f32 v48, |v240|, |v241|, v48                        // 00000000E388: D1D30330 04C3E3F0
	v_max3_f32 v48, |v242|, |v243|, v48                        // 00000000E390: D1D30330 04C3E7F2
	v_max3_f32 v48, |v244|, |v245|, v48                        // 00000000E398: D1D30330 04C3EBF4
	v_max3_f32 v48, |v246|, |v247|, v48                        // 00000000E3A0: D1D30330 04C3EFF6
	v_max3_f32 v48, |v248|, |v249|, v48                        // 00000000E3A8: D1D30330 04C3F3F8
	v_max3_f32 v48, |v250|, |v251|, v48                        // 00000000E3B0: D1D30330 04C3F7FA
	v_max3_f32 v48, |v252|, |v253|, v48                        // 00000000E3B8: D1D30330 04C3FBFC
	v_max3_f32 v48, |v254|, |v255|, v48                        // 00000000E3C0: D1D30330 04C3FFFE
	ds_write_b32 v8, v48 offset:20992                          // 00000000E3C8: D81A5200 00003008
	v_sub_f32_e32 v50, v12, v15                                // 00000000E3D0: 04641F0C
	v_cndmask_b32_e64 v50, v50, 0, s[40:41]                    // 00000000E3D4: D1000032 00A10132
	v_mov_b32_e32 v12, v15                                     // 00000000E3DC: 7E18030F
	v_mul_f32_e32 v50, s64, v50                                // 00000000E3E0: 0A646440
	v_exp_f32_e32 v50, v50                                     // 00000000E3E4: 7E644132
	s_waitcnt lgkmcnt(0)                                       // 00000000E3E8: BF8CC07F
	s_barrier                                                  // 00000000E3EC: BF8A0000
	ds_read_b32 v64, v7 offset:20992                           // 00000000E3F0: D86C5200 40000007
	ds_read_b32 v65, v7 offset:21056                           // 00000000E3F8: D86C5240 41000007
	ds_read_b32 v66, v7 offset:21120                           // 00000000E400: D86C5280 42000007
	ds_read_b32 v67, v7 offset:21184                           // 00000000E408: D86C52C0 43000007
	ds_read_b32 v68, v7 offset:21248                           // 00000000E410: D86C5300 44000007
	ds_read_b32 v69, v7 offset:21312                           // 00000000E418: D86C5340 45000007
	ds_read_b32 v70, v7 offset:21376                           // 00000000E420: D86C5380 46000007
	ds_read_b32 v71, v7 offset:21440                           // 00000000E428: D86C53C0 47000007
	ds_read_b32 v72, v7 offset:21504                           // 00000000E430: D86C5400 48000007
	ds_read_b32 v73, v7 offset:21568                           // 00000000E438: D86C5440 49000007
	ds_read_b32 v74, v7 offset:21632                           // 00000000E440: D86C5480 4A000007
	ds_read_b32 v75, v7 offset:21696                           // 00000000E448: D86C54C0 4B000007
	ds_read_b32 v76, v7 offset:21760                           // 00000000E450: D86C5500 4C000007
	ds_read_b32 v77, v7 offset:21824                           // 00000000E458: D86C5540 4D000007
	ds_read_b32 v78, v7 offset:21888                           // 00000000E460: D86C5580 4E000007
	ds_read_b32 v79, v7 offset:21952                           // 00000000E468: D86C55C0 4F000007
	v_mul_f32_e32 v39, v50, v39                                // 00000000E470: 0A4E4F32
	v_mov_b32_e32 v15, v128                                    // 00000000E474: 7E1E0380
	v_add_f32_e32 v15, v129, v15                               // 00000000E478: 021E1F81
	v_add_f32_e32 v15, v130, v15                               // 00000000E47C: 021E1F82
	v_add_f32_e32 v15, v131, v15                               // 00000000E480: 021E1F83
	v_add_f32_e32 v15, v132, v15                               // 00000000E484: 021E1F84
	v_add_f32_e32 v15, v133, v15                               // 00000000E488: 021E1F85
	v_add_f32_e32 v15, v134, v15                               // 00000000E48C: 021E1F86
	v_add_f32_e32 v15, v135, v15                               // 00000000E490: 021E1F87
	v_add_f32_e32 v15, v136, v15                               // 00000000E494: 021E1F88
	v_add_f32_e32 v15, v137, v15                               // 00000000E498: 021E1F89
	v_add_f32_e32 v15, v138, v15                               // 00000000E49C: 021E1F8A
	v_add_f32_e32 v15, v139, v15                               // 00000000E4A0: 021E1F8B
	v_add_f32_e32 v15, v140, v15                               // 00000000E4A4: 021E1F8C
	v_add_f32_e32 v15, v141, v15                               // 00000000E4A8: 021E1F8D
	v_add_f32_e32 v15, v142, v15                               // 00000000E4AC: 021E1F8E
	v_add_f32_e32 v15, v143, v15                               // 00000000E4B0: 021E1F8F
	v_add_f32_e32 v39, v15, v39                                // 00000000E4B4: 024E4F0F
	s_waitcnt lgkmcnt(0)                                       // 00000000E4B8: BF8CC07F
	v_max3_f32 v48, |v64|, |v65|, v48                          // 00000000E4BC: D1D30330 04C28340
	v_max3_f32 v48, |v66|, |v67|, v48                          // 00000000E4C4: D1D30330 04C28742
	v_max3_f32 v48, |v68|, |v69|, v48                          // 00000000E4CC: D1D30330 04C28B44
	v_max3_f32 v48, |v70|, |v71|, v48                          // 00000000E4D4: D1D30330 04C28F46
	v_max3_f32 v48, |v72|, |v73|, v48                          // 00000000E4DC: D1D30330 04C29348
	v_max3_f32 v48, |v74|, |v75|, v48                          // 00000000E4E4: D1D30330 04C2974A
	v_max3_f32 v48, |v76|, |v77|, v48                          // 00000000E4EC: D1D30330 04C29B4C
	v_max3_f32 v48, |v78|, |v79|, v48                          // 00000000E4F4: D1D30330 04C29F4E
	s_nop 2                                                    // 00000000E4FC: BF800002
	v_rcp_f32_e32 v48, v48                                     // 00000000E500: 7E604530
	s_nop 1                                                    // 00000000E504: BF800001
	v_mul_f32_e32 v48, 0x42fe0000, v48                         // 00000000E508: 0A6060FF 42FE0000
	v_mul_f32_e32 v128, v48, v240                              // 00000000E510: 0B01E130
	v_mul_f32_e32 v129, v48, v241                              // 00000000E514: 0B03E330
	v_mul_f32_e32 v130, v48, v242                              // 00000000E518: 0B05E530
	v_mul_f32_e32 v131, v48, v243                              // 00000000E51C: 0B07E730
	v_mul_f32_e32 v132, v48, v244                              // 00000000E520: 0B09E930
	v_mul_f32_e32 v133, v48, v245                              // 00000000E524: 0B0BEB30
	v_mul_f32_e32 v134, v48, v246                              // 00000000E528: 0B0DED30
	v_mul_f32_e32 v135, v48, v247                              // 00000000E52C: 0B0FEF30
	v_mul_f32_e32 v136, v48, v248                              // 00000000E530: 0B11F130
	v_mul_f32_e32 v137, v48, v249                              // 00000000E534: 0B13F330
	v_mul_f32_e32 v138, v48, v250                              // 00000000E538: 0B15F530
	v_mul_f32_e32 v139, v48, v251                              // 00000000E53C: 0B17F730
	v_mul_f32_e32 v140, v48, v252                              // 00000000E540: 0B19F930
	v_mul_f32_e32 v141, v48, v253                              // 00000000E544: 0B1BFB30
	v_mul_f32_e32 v142, v48, v254                              // 00000000E548: 0B1DFD30
	v_mul_f32_e32 v143, v48, v255                              // 00000000E54C: 0B1FFF30
	v_cvt_i32_f32_e32 v128, v128                               // 00000000E550: 7F001180
	v_cvt_i32_f32_e32 v129, v129                               // 00000000E554: 7F021181
	v_cvt_i32_f32_e32 v130, v130                               // 00000000E558: 7F041182
	v_cvt_i32_f32_e32 v131, v131                               // 00000000E55C: 7F061183
	v_cvt_i32_f32_e32 v132, v132                               // 00000000E560: 7F081184
	v_cvt_i32_f32_e32 v133, v133                               // 00000000E564: 7F0A1185
	v_cvt_i32_f32_e32 v134, v134                               // 00000000E568: 7F0C1186
	v_cvt_i32_f32_e32 v135, v135                               // 00000000E56C: 7F0E1187
	v_cvt_i32_f32_e32 v136, v136                               // 00000000E570: 7F101188
	v_cvt_i32_f32_e32 v137, v137                               // 00000000E574: 7F121189
	v_cvt_i32_f32_e32 v138, v138                               // 00000000E578: 7F14118A
	v_cvt_i32_f32_e32 v139, v139                               // 00000000E57C: 7F16118B
	v_cvt_i32_f32_e32 v140, v140                               // 00000000E580: 7F18118C
	v_cvt_i32_f32_e32 v141, v141                               // 00000000E584: 7F1A118D
	v_cvt_i32_f32_e32 v142, v142                               // 00000000E588: 7F1C118E
	v_cvt_i32_f32_e32 v143, v143                               // 00000000E58C: 7F1E118F
	v_perm_b32 v128, v129, v128, s53                           // 00000000E590: D1ED0080 00D70181
	v_perm_b32 v128, v130, v128, s54                           // 00000000E598: D1ED0080 00DB0182
	v_perm_b32 v128, v131, v128, s55                           // 00000000E5A0: D1ED0080 00DF0183
	v_perm_b32 v129, v133, v132, s53                           // 00000000E5A8: D1ED0081 00D70985
	v_perm_b32 v129, v134, v129, s54                           // 00000000E5B0: D1ED0081 00DB0386
	v_perm_b32 v129, v135, v129, s55                           // 00000000E5B8: D1ED0081 00DF0387
	v_perm_b32 v130, v137, v136, s53                           // 00000000E5C0: D1ED0082 00D71189
	v_perm_b32 v130, v138, v130, s54                           // 00000000E5C8: D1ED0082 00DB058A
	v_perm_b32 v130, v139, v130, s55                           // 00000000E5D0: D1ED0082 00DF058B
	v_perm_b32 v131, v141, v140, s53                           // 00000000E5D8: D1ED0083 00D7198D
	v_perm_b32 v131, v142, v131, s54                           // 00000000E5E0: D1ED0083 00DB078E
	v_perm_b32 v131, v143, v131, s55                           // 00000000E5E8: D1ED0083 00DF078F
	ds_write_b32 v10, v128 offset:29184                        // 00000000E5F0: D81A7200 0000800A
	ds_write_b32 v10, v129 offset:30208                        // 00000000E5F8: D81A7600 0000810A
	ds_write_b32 v10, v130 offset:31232                        // 00000000E600: D81A7A00 0000820A
	ds_write_b32 v10, v131 offset:32256                        // 00000000E608: D81A7E00 0000830A
	v_add_f32_e32 v216, v216, v184                             // 00000000E610: 03B171D8
	v_add_f32_e32 v217, v217, v185                             // 00000000E614: 03B373D9
	v_add_f32_e32 v218, v218, v186                             // 00000000E618: 03B575DA
	v_add_f32_e32 v219, v219, v187                             // 00000000E61C: 03B777DB
	v_add_f32_e32 v220, v220, v188                             // 00000000E620: 03B979DC
	v_add_f32_e32 v221, v221, v189                             // 00000000E624: 03BB7BDD
	v_add_f32_e32 v222, v222, v190                             // 00000000E628: 03BD7DDE
	v_add_f32_e32 v223, v223, v191                             // 00000000E62C: 03BF7FDF
	v_rcp_f32_e32 v45, v48                                     // 00000000E630: 7E5A4530
	s_waitcnt lgkmcnt(0)                                       // 00000000E634: BF8CC07F
	s_barrier                                                  // 00000000E638: BF8A0000
	ds_read_b64 v[128:129], v9 offset:29184                    // 00000000E63C: D8EC7200 80000009
	ds_read_b64 v[130:131], v9 offset:29312                    // 00000000E644: D8EC7280 82000009
	ds_read_b64 v[132:133], v9 offset:30208                    // 00000000E64C: D8EC7600 84000009
	ds_read_b64 v[134:135], v9 offset:30336                    // 00000000E654: D8EC7680 86000009
	ds_read_b64 v[136:137], v9 offset:31232                    // 00000000E65C: D8EC7A00 88000009
	ds_read_b64 v[138:139], v9 offset:31360                    // 00000000E664: D8EC7A80 8A000009
	ds_read_b64 v[140:141], v9 offset:32256                    // 00000000E66C: D8EC7E00 8C000009
	ds_read_b64 v[142:143], v9 offset:32384                    // 00000000E674: D8EC7E80 8E000009
	s_waitcnt vmcnt(0)                                         // 00000000E67C: BF8C0F70
	s_barrier                                                  // 00000000E680: BF8A0000
	v_mfma_i32_16x16x32_i8 v[176:179], a[96:97], v[112:113], 0 // 00000000E684: D3D700B0 0A02E160
	v_mfma_i32_16x16x32_i8 v[176:179], a[98:99], v[114:115], v[176:179]// 00000000E68C: D3D700B0 0EC2E562
	v_mfma_i32_16x16x32_i8 v[176:179], a[100:101], v[116:117], v[176:179]// 00000000E694: D3D700B0 0EC2E964
	v_mfma_i32_16x16x32_i8 v[176:179], a[102:103], v[118:119], v[176:179]// 00000000E69C: D3D700B0 0EC2ED66
	v_mfma_i32_16x16x32_i8 v[176:179], a[104:105], v[120:121], v[176:179]// 00000000E6A4: D3D700B0 0EC2F168
	v_mfma_i32_16x16x32_i8 v[176:179], a[106:107], v[122:123], v[176:179]// 00000000E6AC: D3D700B0 0EC2F56A
	v_mfma_i32_16x16x32_i8 v[176:179], a[108:109], v[124:125], v[176:179]// 00000000E6B4: D3D700B0 0EC2F96C
	v_mfma_i32_16x16x32_i8 v[176:179], a[110:111], v[126:127], v[176:179]// 00000000E6BC: D3D700B0 0EC2FD6E
	v_mfma_i32_16x16x32_i8 v[180:183], a[112:113], v[112:113], 0// 00000000E6C4: D3D700B4 0A02E170
	v_mfma_i32_16x16x32_i8 v[180:183], a[114:115], v[114:115], v[180:183]// 00000000E6CC: D3D700B4 0ED2E572
	v_mfma_i32_16x16x32_i8 v[180:183], a[116:117], v[116:117], v[180:183]// 00000000E6D4: D3D700B4 0ED2E974
	v_mfma_i32_16x16x32_i8 v[180:183], a[118:119], v[118:119], v[180:183]// 00000000E6DC: D3D700B4 0ED2ED76
	v_mfma_i32_16x16x32_i8 v[180:183], a[120:121], v[120:121], v[180:183]// 00000000E6E4: D3D700B4 0ED2F178
	v_mfma_i32_16x16x32_i8 v[180:183], a[122:123], v[122:123], v[180:183]// 00000000E6EC: D3D700B4 0ED2F57A
	v_mfma_i32_16x16x32_i8 v[180:183], a[124:125], v[124:125], v[180:183]// 00000000E6F4: D3D700B4 0ED2F97C
	v_mfma_i32_16x16x32_i8 v[180:183], a[126:127], v[126:127], v[180:183]// 00000000E6FC: D3D700B4 0ED2FD7E
	v_mfma_i32_16x16x32_i8 v[184:187], a[96:97], v[128:129], 0 // 00000000E704: D3D700B8 0A030160
	v_mfma_i32_16x16x32_i8 v[184:187], a[98:99], v[130:131], v[184:187]// 00000000E70C: D3D700B8 0EE30562
	v_mfma_i32_16x16x32_i8 v[184:187], a[100:101], v[132:133], v[184:187]// 00000000E714: D3D700B8 0EE30964
	v_mfma_i32_16x16x32_i8 v[184:187], a[102:103], v[134:135], v[184:187]// 00000000E71C: D3D700B8 0EE30D66
	v_mfma_i32_16x16x32_i8 v[184:187], a[104:105], v[136:137], v[184:187]// 00000000E724: D3D700B8 0EE31168
	v_mfma_i32_16x16x32_i8 v[184:187], a[106:107], v[138:139], v[184:187]// 00000000E72C: D3D700B8 0EE3156A
	v_mfma_i32_16x16x32_i8 v[184:187], a[108:109], v[140:141], v[184:187]// 00000000E734: D3D700B8 0EE3196C
	v_mfma_i32_16x16x32_i8 v[184:187], a[110:111], v[142:143], v[184:187]// 00000000E73C: D3D700B8 0EE31D6E
	v_mfma_i32_16x16x32_i8 v[188:191], a[112:113], v[128:129], 0// 00000000E744: D3D700BC 0A030170
	v_mfma_i32_16x16x32_i8 v[188:191], a[114:115], v[130:131], v[188:191]// 00000000E74C: D3D700BC 0EF30572
	v_mfma_i32_16x16x32_i8 v[188:191], a[116:117], v[132:133], v[188:191]// 00000000E754: D3D700BC 0EF30974
	v_mfma_i32_16x16x32_i8 v[188:191], a[118:119], v[134:135], v[188:191]// 00000000E75C: D3D700BC 0EF30D76
	v_mfma_i32_16x16x32_i8 v[188:191], a[120:121], v[136:137], v[188:191]// 00000000E764: D3D700BC 0EF31178
	v_mfma_i32_16x16x32_i8 v[188:191], a[122:123], v[138:139], v[188:191]// 00000000E76C: D3D700BC 0EF3157A
	v_mfma_i32_16x16x32_i8 v[188:191], a[124:125], v[140:141], v[188:191]// 00000000E774: D3D700BC 0EF3197C
	v_mfma_i32_16x16x32_i8 v[188:191], a[126:127], v[142:143], v[188:191]// 00000000E77C: D3D700BC 0EF31D7E
	s_nop 4                                                    // 00000000E784: BF800004
	s_branch label_3163                                        // 00000000E788: BF820000

000000000000e78c <label_3163>:
	v_mul_f32_e32 v208, v49, v208                              // 00000000E78C: 0BA1A131
	v_mul_f32_e32 v209, v49, v209                              // 00000000E790: 0BA3A331
	v_mul_f32_e32 v210, v49, v210                              // 00000000E794: 0BA5A531
	v_mul_f32_e32 v211, v49, v211                              // 00000000E798: 0BA7A731
	v_mul_f32_e32 v212, v49, v212                              // 00000000E79C: 0BA9A931
	v_mul_f32_e32 v213, v49, v213                              // 00000000E7A0: 0BABAB31
	v_mul_f32_e32 v214, v49, v214                              // 00000000E7A4: 0BADAD31
	v_mul_f32_e32 v215, v49, v215                              // 00000000E7A8: 0BAFAF31
	v_cvt_f32_i32_e32 v176, v176                               // 00000000E7AC: 7F600BB0
	v_cvt_f32_i32_e32 v177, v177                               // 00000000E7B0: 7F620BB1
	v_cvt_f32_i32_e32 v178, v178                               // 00000000E7B4: 7F640BB2
	v_cvt_f32_i32_e32 v179, v179                               // 00000000E7B8: 7F660BB3
	v_cvt_f32_i32_e32 v180, v180                               // 00000000E7BC: 7F680BB4
	v_cvt_f32_i32_e32 v181, v181                               // 00000000E7C0: 7F6A0BB5
	v_cvt_f32_i32_e32 v182, v182                               // 00000000E7C4: 7F6C0BB6
	v_cvt_f32_i32_e32 v183, v183                               // 00000000E7C8: 7F6E0BB7
	v_mul_f32_e32 v176, v44, v176                              // 00000000E7CC: 0B61612C
	v_mul_f32_e32 v177, v44, v177                              // 00000000E7D0: 0B63632C
	v_mul_f32_e32 v178, v44, v178                              // 00000000E7D4: 0B65652C
	v_mul_f32_e32 v179, v44, v179                              // 00000000E7D8: 0B67672C
	v_mul_f32_e32 v180, v44, v180                              // 00000000E7DC: 0B69692C
	v_mul_f32_e32 v181, v44, v181                              // 00000000E7E0: 0B6B6B2C
	v_mul_f32_e32 v182, v44, v182                              // 00000000E7E4: 0B6D6D2C
	v_mul_f32_e32 v183, v44, v183                              // 00000000E7E8: 0B6F6F2C
	v_add_f32_e32 v208, v208, v176                             // 00000000E7EC: 03A161D0
	v_add_f32_e32 v209, v209, v177                             // 00000000E7F0: 03A363D1
	v_add_f32_e32 v210, v210, v178                             // 00000000E7F4: 03A565D2
	v_add_f32_e32 v211, v211, v179                             // 00000000E7F8: 03A767D3
	v_add_f32_e32 v212, v212, v180                             // 00000000E7FC: 03A969D4
	v_add_f32_e32 v213, v213, v181                             // 00000000E800: 03AB6BD5
	v_add_f32_e32 v214, v214, v182                             // 00000000E804: 03AD6DD6
	v_add_f32_e32 v215, v215, v183                             // 00000000E808: 03AF6FD7
	ds_write_b32 v8, v38 offset:16896                          // 00000000E80C: D81A4200 00002608
	s_waitcnt lgkmcnt(0)                                       // 00000000E814: BF8CC07F
	s_barrier                                                  // 00000000E818: BF8A0000
	ds_read_b32 v64, v7 offset:16896                           // 00000000E81C: D86C4200 40000007
	ds_read_b32 v65, v7 offset:16960                           // 00000000E824: D86C4240 41000007
	ds_read_b32 v66, v7 offset:17024                           // 00000000E82C: D86C4280 42000007
	ds_read_b32 v67, v7 offset:17088                           // 00000000E834: D86C42C0 43000007
	ds_read_b32 v68, v7 offset:17152                           // 00000000E83C: D86C4300 44000007
	ds_read_b32 v69, v7 offset:17216                           // 00000000E844: D86C4340 45000007
	ds_read_b32 v70, v7 offset:17280                           // 00000000E84C: D86C4380 46000007
	ds_read_b32 v71, v7 offset:17344                           // 00000000E854: D86C43C0 47000007
	ds_read_b32 v72, v7 offset:17408                           // 00000000E85C: D86C4400 48000007
	ds_read_b32 v73, v7 offset:17472                           // 00000000E864: D86C4440 49000007
	ds_read_b32 v74, v7 offset:17536                           // 00000000E86C: D86C4480 4A000007
	ds_read_b32 v75, v7 offset:17600                           // 00000000E874: D86C44C0 4B000007
	ds_read_b32 v76, v7 offset:17664                           // 00000000E87C: D86C4500 4C000007
	ds_read_b32 v77, v7 offset:17728                           // 00000000E884: D86C4540 4D000007
	ds_read_b32 v78, v7 offset:17792                           // 00000000E88C: D86C4580 4E000007
	ds_read_b32 v79, v7 offset:17856                           // 00000000E894: D86C45C0 4F000007
	s_waitcnt lgkmcnt(0)                                       // 00000000E89C: BF8CC07F
	v_mov_b32_e32 v38, 0                                       // 00000000E8A0: 7E4C0280
	v_add_f32_e32 v38, v64, v38                                // 00000000E8A4: 024C4D40
	v_add_f32_e32 v38, v65, v38                                // 00000000E8A8: 024C4D41
	v_add_f32_e32 v38, v66, v38                                // 00000000E8AC: 024C4D42
	v_add_f32_e32 v38, v67, v38                                // 00000000E8B0: 024C4D43
	v_add_f32_e32 v38, v68, v38                                // 00000000E8B4: 024C4D44
	v_add_f32_e32 v38, v69, v38                                // 00000000E8B8: 024C4D45
	v_add_f32_e32 v38, v70, v38                                // 00000000E8BC: 024C4D46
	v_add_f32_e32 v38, v71, v38                                // 00000000E8C0: 024C4D47
	v_add_f32_e32 v38, v72, v38                                // 00000000E8C4: 024C4D48
	v_add_f32_e32 v38, v73, v38                                // 00000000E8C8: 024C4D49
	v_add_f32_e32 v38, v74, v38                                // 00000000E8CC: 024C4D4A
	v_add_f32_e32 v38, v75, v38                                // 00000000E8D0: 024C4D4B
	v_add_f32_e32 v38, v76, v38                                // 00000000E8D4: 024C4D4C
	v_add_f32_e32 v38, v77, v38                                // 00000000E8D8: 024C4D4D
	v_add_f32_e32 v38, v78, v38                                // 00000000E8DC: 024C4D4E
	v_add_f32_e32 v38, v79, v38                                // 00000000E8E0: 024C4D4F
	s_nop 1                                                    // 00000000E8E4: BF800001
	v_rcp_f32_e32 v38, v38                                     // 00000000E8E8: 7E4C4526
	s_nop 1                                                    // 00000000E8EC: BF800001
	v_mul_f32_e32 v208, v38, v208                              // 00000000E8F0: 0BA1A126
	v_mul_f32_e32 v209, v38, v209                              // 00000000E8F4: 0BA3A326
	v_mul_f32_e32 v210, v38, v210                              // 00000000E8F8: 0BA5A526
	v_mul_f32_e32 v211, v38, v211                              // 00000000E8FC: 0BA7A726
	v_mul_f32_e32 v212, v38, v212                              // 00000000E900: 0BA9A926
	v_mul_f32_e32 v213, v38, v213                              // 00000000E904: 0BABAB26
	v_mul_f32_e32 v214, v38, v214                              // 00000000E908: 0BADAD26
	v_mul_f32_e32 v215, v38, v215                              // 00000000E90C: 0BAFAF26
	v_mov_b32_e32 v19, 0xffff0000                              // 00000000E910: 7E2602FF FFFF0000
	v_mov_b32_e32 v20, 0x7fff0000                              // 00000000E918: 7E2802FF 7FFF0000
	v_mov_b32_e32 v21, 0x7fff                                  // 00000000E920: 7E2A02FF 00007FFF
	v_cmp_u_f32_e64 s[40:41], v208, v208                       // 00000000E928: D0480028 0003A1D0
	v_add3_u32 v18, v208, v21, 1                               // 00000000E930: D1FF0012 02062BD0
	v_cndmask_b32_e64 v64, v18, v20, s[40:41]                  // 00000000E938: D1000040 00A22912
	v_cmp_u_f32_e64 s[40:41], v209, v209                       // 00000000E940: D0480028 0003A3D1
	v_add3_u32 v18, v209, v21, 1                               // 00000000E948: D1FF0012 02062BD1
	v_cndmask_b32_e64 v65, v18, v20, s[40:41]                  // 00000000E950: D1000041 00A22912
	v_perm_b32 v208, v65, v64, s52                             // 00000000E958: D1ED00D0 00D28141
	v_cmp_u_f32_e64 s[40:41], v210, v210                       // 00000000E960: D0480028 0003A5D2
	v_add3_u32 v18, v210, v21, 1                               // 00000000E968: D1FF0012 02062BD2
	v_cndmask_b32_e64 v64, v18, v20, s[40:41]                  // 00000000E970: D1000040 00A22912
	v_cmp_u_f32_e64 s[40:41], v211, v211                       // 00000000E978: D0480028 0003A7D3
	v_add3_u32 v18, v211, v21, 1                               // 00000000E980: D1FF0012 02062BD3
	v_cndmask_b32_e64 v65, v18, v20, s[40:41]                  // 00000000E988: D1000041 00A22912
	v_perm_b32 v209, v65, v64, s52                             // 00000000E990: D1ED00D1 00D28141
	v_cmp_u_f32_e64 s[40:41], v212, v212                       // 00000000E998: D0480028 0003A9D4
	v_add3_u32 v18, v212, v21, 1                               // 00000000E9A0: D1FF0012 02062BD4
	v_cndmask_b32_e64 v64, v18, v20, s[40:41]                  // 00000000E9A8: D1000040 00A22912
	v_cmp_u_f32_e64 s[40:41], v213, v213                       // 00000000E9B0: D0480028 0003ABD5
	v_add3_u32 v18, v213, v21, 1                               // 00000000E9B8: D1FF0012 02062BD5
	v_cndmask_b32_e64 v65, v18, v20, s[40:41]                  // 00000000E9C0: D1000041 00A22912
	v_perm_b32 v210, v65, v64, s52                             // 00000000E9C8: D1ED00D2 00D28141
	v_cmp_u_f32_e64 s[40:41], v214, v214                       // 00000000E9D0: D0480028 0003ADD6
	v_add3_u32 v18, v214, v21, 1                               // 00000000E9D8: D1FF0012 02062BD6
	v_cndmask_b32_e64 v64, v18, v20, s[40:41]                  // 00000000E9E0: D1000040 00A22912
	v_cmp_u_f32_e64 s[40:41], v215, v215                       // 00000000E9E8: D0480028 0003AFD7
	v_add3_u32 v18, v215, v21, 1                               // 00000000E9F0: D1FF0012 02062BD7
	v_cndmask_b32_e64 v65, v18, v20, s[40:41]                  // 00000000E9F8: D1000041 00A22912
	v_perm_b32 v211, v65, v64, s52                             // 00000000EA00: D1ED00D3 00D28141
	s_nop 1                                                    // 00000000EA08: BF800001
	v_lshrrev_b32_e32 v64, 4, v0                               // 00000000EA0C: 20800084
	v_mul_i32_i24_e32 v68, 34, v64                             // 00000000EA10: 0C8880A2
	v_and_b32_e32 v64, 15, v0                                  // 00000000EA14: 2680008F
	v_mul_i32_i24_e32 v65, 2, v64                              // 00000000EA18: 0C828082
	v_add_u32_e32 v68, v65, v68                                // 00000000EA1C: 68888941
	s_mul_i32 s60, s7, 0x88                                    // 00000000EA20: 923CFF07 00000088
	v_add_u32_e32 v68, s60, v68                                // 00000000EA28: 6888883C
	v_lshlrev_b32_e32 v68, 2, v68                              // 00000000EA2C: 24888882
	ds_write_b64 v68, v[208:209] offset:41472                  // 00000000EA30: D89AA200 0000D044
	ds_write_b64 v68, v[210:211] offset:43648                  // 00000000EA38: D89AAA80 0000D244
	v_lshrrev_b32_e32 v64, 1, v0                               // 00000000EA40: 20800081
	v_mul_i32_i24_e32 v68, 34, v64                             // 00000000EA44: 0C8880A2
	v_and_b32_e32 v65, 1, v0                                   // 00000000EA48: 26820081
	v_add_u32_e32 v68, v65, v68                                // 00000000EA4C: 68888941
	s_mul_i32 s60, s7, 2                                       // 00000000EA50: 923C8207
	v_add_u32_e32 v68, s60, v68                                // 00000000EA54: 6888883C
	v_lshlrev_b32_e32 v68, 2, v68                              // 00000000EA58: 24888882
	s_waitcnt lgkmcnt(0)                                       // 00000000EA5C: BF8CC07F
	s_barrier                                                  // 00000000EA60: BF8A0000
	ds_read_b32 v208, v68 offset:41472                         // 00000000EA64: D86CA200 D0000044
	ds_read_b32 v209, v68 offset:41504                         // 00000000EA6C: D86CA220 D1000044
	ds_read_b32 v210, v68 offset:41536                         // 00000000EA74: D86CA240 D2000044
	ds_read_b32 v211, v68 offset:41568                         // 00000000EA7C: D86CA260 D3000044
	s_mul_i32 s60, s7, 0x100                                   // 00000000EA84: 923CFF07 00000100
	v_lshlrev_b32_e32 v64, 2, v0                               // 00000000EA8C: 24800082
	v_add_u32_e64 v64, v64, s60                                // 00000000EA90: D1340040 00007940
	s_waitcnt lgkmcnt(0)                                       // 00000000EA98: BF8CC07F
	buffer_store_dword v208, v64, s[8:11], 0 offen             // 00000000EA9C: E0701000 8002D040
	buffer_store_dword v209, v64, s[8:11], 0 offen offset:1024 // 00000000EAA4: E0701400 8002D140
	buffer_store_dword v210, v64, s[8:11], 0 offen offset:2048 // 00000000EAAC: E0701800 8002D240
	buffer_store_dword v211, v64, s[8:11], 0 offen offset:3072 // 00000000EAB4: E0701C00 8002D340
	s_add_u32 s8, s75, s8                                      // 00000000EABC: 8008084B
	s_addc_u32 s9, 0, s9                                       // 00000000EAC0: 82090980
	v_mul_f32_e32 v216, v50, v216                              // 00000000EAC4: 0BB1B132
	v_mul_f32_e32 v217, v50, v217                              // 00000000EAC8: 0BB3B332
	v_mul_f32_e32 v218, v50, v218                              // 00000000EACC: 0BB5B532
	v_mul_f32_e32 v219, v50, v219                              // 00000000EAD0: 0BB7B732
	v_mul_f32_e32 v220, v50, v220                              // 00000000EAD4: 0BB9B932
	v_mul_f32_e32 v221, v50, v221                              // 00000000EAD8: 0BBBBB32
	v_mul_f32_e32 v222, v50, v222                              // 00000000EADC: 0BBDBD32
	v_mul_f32_e32 v223, v50, v223                              // 00000000EAE0: 0BBFBF32
	v_cvt_f32_i32_e32 v184, v184                               // 00000000EAE4: 7F700BB8
	v_cvt_f32_i32_e32 v185, v185                               // 00000000EAE8: 7F720BB9
	v_cvt_f32_i32_e32 v186, v186                               // 00000000EAEC: 7F740BBA
	v_cvt_f32_i32_e32 v187, v187                               // 00000000EAF0: 7F760BBB
	v_cvt_f32_i32_e32 v188, v188                               // 00000000EAF4: 7F780BBC
	v_cvt_f32_i32_e32 v189, v189                               // 00000000EAF8: 7F7A0BBD
	v_cvt_f32_i32_e32 v190, v190                               // 00000000EAFC: 7F7C0BBE
	v_cvt_f32_i32_e32 v191, v191                               // 00000000EB00: 7F7E0BBF
	v_mul_f32_e32 v184, v45, v184                              // 00000000EB04: 0B71712D
	v_mul_f32_e32 v185, v45, v185                              // 00000000EB08: 0B73732D
	v_mul_f32_e32 v186, v45, v186                              // 00000000EB0C: 0B75752D
	v_mul_f32_e32 v187, v45, v187                              // 00000000EB10: 0B77772D
	v_mul_f32_e32 v188, v45, v188                              // 00000000EB14: 0B79792D
	v_mul_f32_e32 v189, v45, v189                              // 00000000EB18: 0B7B7B2D
	v_mul_f32_e32 v190, v45, v190                              // 00000000EB1C: 0B7D7D2D
	v_mul_f32_e32 v191, v45, v191                              // 00000000EB20: 0B7F7F2D
	v_add_f32_e32 v216, v216, v184                             // 00000000EB24: 03B171D8
	v_add_f32_e32 v217, v217, v185                             // 00000000EB28: 03B373D9
	v_add_f32_e32 v218, v218, v186                             // 00000000EB2C: 03B575DA
	v_add_f32_e32 v219, v219, v187                             // 00000000EB30: 03B777DB
	v_add_f32_e32 v220, v220, v188                             // 00000000EB34: 03B979DC
	v_add_f32_e32 v221, v221, v189                             // 00000000EB38: 03BB7BDD
	v_add_f32_e32 v222, v222, v190                             // 00000000EB3C: 03BD7DDE
	v_add_f32_e32 v223, v223, v191                             // 00000000EB40: 03BF7FDF
	ds_write_b32 v8, v39 offset:16896                          // 00000000EB44: D81A4200 00002708
	s_waitcnt lgkmcnt(0)                                       // 00000000EB4C: BF8CC07F
	s_barrier                                                  // 00000000EB50: BF8A0000
	ds_read_b32 v64, v7 offset:16896                           // 00000000EB54: D86C4200 40000007
	ds_read_b32 v65, v7 offset:16960                           // 00000000EB5C: D86C4240 41000007
	ds_read_b32 v66, v7 offset:17024                           // 00000000EB64: D86C4280 42000007
	ds_read_b32 v67, v7 offset:17088                           // 00000000EB6C: D86C42C0 43000007
	ds_read_b32 v68, v7 offset:17152                           // 00000000EB74: D86C4300 44000007
	ds_read_b32 v69, v7 offset:17216                           // 00000000EB7C: D86C4340 45000007
	ds_read_b32 v70, v7 offset:17280                           // 00000000EB84: D86C4380 46000007
	ds_read_b32 v71, v7 offset:17344                           // 00000000EB8C: D86C43C0 47000007
	ds_read_b32 v72, v7 offset:17408                           // 00000000EB94: D86C4400 48000007
	ds_read_b32 v73, v7 offset:17472                           // 00000000EB9C: D86C4440 49000007
	ds_read_b32 v74, v7 offset:17536                           // 00000000EBA4: D86C4480 4A000007
	ds_read_b32 v75, v7 offset:17600                           // 00000000EBAC: D86C44C0 4B000007
	ds_read_b32 v76, v7 offset:17664                           // 00000000EBB4: D86C4500 4C000007
	ds_read_b32 v77, v7 offset:17728                           // 00000000EBBC: D86C4540 4D000007
	ds_read_b32 v78, v7 offset:17792                           // 00000000EBC4: D86C4580 4E000007
	ds_read_b32 v79, v7 offset:17856                           // 00000000EBCC: D86C45C0 4F000007
	s_waitcnt lgkmcnt(0)                                       // 00000000EBD4: BF8CC07F
	v_mov_b32_e32 v39, 0                                       // 00000000EBD8: 7E4E0280
	v_add_f32_e32 v39, v64, v39                                // 00000000EBDC: 024E4F40
	v_add_f32_e32 v39, v65, v39                                // 00000000EBE0: 024E4F41
	v_add_f32_e32 v39, v66, v39                                // 00000000EBE4: 024E4F42
	v_add_f32_e32 v39, v67, v39                                // 00000000EBE8: 024E4F43
	v_add_f32_e32 v39, v68, v39                                // 00000000EBEC: 024E4F44
	v_add_f32_e32 v39, v69, v39                                // 00000000EBF0: 024E4F45
	v_add_f32_e32 v39, v70, v39                                // 00000000EBF4: 024E4F46
	v_add_f32_e32 v39, v71, v39                                // 00000000EBF8: 024E4F47
	v_add_f32_e32 v39, v72, v39                                // 00000000EBFC: 024E4F48
	v_add_f32_e32 v39, v73, v39                                // 00000000EC00: 024E4F49
	v_add_f32_e32 v39, v74, v39                                // 00000000EC04: 024E4F4A
	v_add_f32_e32 v39, v75, v39                                // 00000000EC08: 024E4F4B
	v_add_f32_e32 v39, v76, v39                                // 00000000EC0C: 024E4F4C
	v_add_f32_e32 v39, v77, v39                                // 00000000EC10: 024E4F4D
	v_add_f32_e32 v39, v78, v39                                // 00000000EC14: 024E4F4E
	v_add_f32_e32 v39, v79, v39                                // 00000000EC18: 024E4F4F
	s_nop 1                                                    // 00000000EC1C: BF800001
	v_rcp_f32_e32 v39, v39                                     // 00000000EC20: 7E4E4527
	s_nop 1                                                    // 00000000EC24: BF800001
	v_mul_f32_e32 v216, v39, v216                              // 00000000EC28: 0BB1B127
	v_mul_f32_e32 v217, v39, v217                              // 00000000EC2C: 0BB3B327
	v_mul_f32_e32 v218, v39, v218                              // 00000000EC30: 0BB5B527
	v_mul_f32_e32 v219, v39, v219                              // 00000000EC34: 0BB7B727
	v_mul_f32_e32 v220, v39, v220                              // 00000000EC38: 0BB9B927
	v_mul_f32_e32 v221, v39, v221                              // 00000000EC3C: 0BBBBB27
	v_mul_f32_e32 v222, v39, v222                              // 00000000EC40: 0BBDBD27
	v_mul_f32_e32 v223, v39, v223                              // 00000000EC44: 0BBFBF27
	v_mov_b32_e32 v19, 0xffff0000                              // 00000000EC48: 7E2602FF FFFF0000
	v_mov_b32_e32 v20, 0x7fff0000                              // 00000000EC50: 7E2802FF 7FFF0000
	v_mov_b32_e32 v21, 0x7fff                                  // 00000000EC58: 7E2A02FF 00007FFF
	v_cmp_u_f32_e64 s[40:41], v216, v216                       // 00000000EC60: D0480028 0003B1D8
	v_add3_u32 v18, v216, v21, 1                               // 00000000EC68: D1FF0012 02062BD8
	v_cndmask_b32_e64 v64, v18, v20, s[40:41]                  // 00000000EC70: D1000040 00A22912
	v_cmp_u_f32_e64 s[40:41], v217, v217                       // 00000000EC78: D0480028 0003B3D9
	v_add3_u32 v18, v217, v21, 1                               // 00000000EC80: D1FF0012 02062BD9
	v_cndmask_b32_e64 v65, v18, v20, s[40:41]                  // 00000000EC88: D1000041 00A22912
	v_perm_b32 v216, v65, v64, s52                             // 00000000EC90: D1ED00D8 00D28141
	v_cmp_u_f32_e64 s[40:41], v218, v218                       // 00000000EC98: D0480028 0003B5DA
	v_add3_u32 v18, v218, v21, 1                               // 00000000ECA0: D1FF0012 02062BDA
	v_cndmask_b32_e64 v64, v18, v20, s[40:41]                  // 00000000ECA8: D1000040 00A22912
	v_cmp_u_f32_e64 s[40:41], v219, v219                       // 00000000ECB0: D0480028 0003B7DB
	v_add3_u32 v18, v219, v21, 1                               // 00000000ECB8: D1FF0012 02062BDB
	v_cndmask_b32_e64 v65, v18, v20, s[40:41]                  // 00000000ECC0: D1000041 00A22912
	v_perm_b32 v217, v65, v64, s52                             // 00000000ECC8: D1ED00D9 00D28141
	v_cmp_u_f32_e64 s[40:41], v220, v220                       // 00000000ECD0: D0480028 0003B9DC
	v_add3_u32 v18, v220, v21, 1                               // 00000000ECD8: D1FF0012 02062BDC
	v_cndmask_b32_e64 v64, v18, v20, s[40:41]                  // 00000000ECE0: D1000040 00A22912
	v_cmp_u_f32_e64 s[40:41], v221, v221                       // 00000000ECE8: D0480028 0003BBDD
	v_add3_u32 v18, v221, v21, 1                               // 00000000ECF0: D1FF0012 02062BDD
	v_cndmask_b32_e64 v65, v18, v20, s[40:41]                  // 00000000ECF8: D1000041 00A22912
	v_perm_b32 v218, v65, v64, s52                             // 00000000ED00: D1ED00DA 00D28141
	v_cmp_u_f32_e64 s[40:41], v222, v222                       // 00000000ED08: D0480028 0003BDDE
	v_add3_u32 v18, v222, v21, 1                               // 00000000ED10: D1FF0012 02062BDE
	v_cndmask_b32_e64 v64, v18, v20, s[40:41]                  // 00000000ED18: D1000040 00A22912
	v_cmp_u_f32_e64 s[40:41], v223, v223                       // 00000000ED20: D0480028 0003BFDF
	v_add3_u32 v18, v223, v21, 1                               // 00000000ED28: D1FF0012 02062BDF
	v_cndmask_b32_e64 v65, v18, v20, s[40:41]                  // 00000000ED30: D1000041 00A22912
	v_perm_b32 v219, v65, v64, s52                             // 00000000ED38: D1ED00DB 00D28141
	s_nop 1                                                    // 00000000ED40: BF800001
	v_lshrrev_b32_e32 v64, 4, v0                               // 00000000ED44: 20800084
	v_mul_i32_i24_e32 v68, 34, v64                             // 00000000ED48: 0C8880A2
	v_and_b32_e32 v64, 15, v0                                  // 00000000ED4C: 2680008F
	v_mul_i32_i24_e32 v65, 2, v64                              // 00000000ED50: 0C828082
	v_add_u32_e32 v68, v65, v68                                // 00000000ED54: 68888941
	s_mul_i32 s60, s7, 0x88                                    // 00000000ED58: 923CFF07 00000088
	v_add_u32_e32 v68, s60, v68                                // 00000000ED60: 6888883C
	v_lshlrev_b32_e32 v68, 2, v68                              // 00000000ED64: 24888882
	ds_write_b64 v68, v[216:217] offset:41472                  // 00000000ED68: D89AA200 0000D844
	ds_write_b64 v68, v[218:219] offset:43648                  // 00000000ED70: D89AAA80 0000DA44
	v_lshrrev_b32_e32 v64, 1, v0                               // 00000000ED78: 20800081
	v_mul_i32_i24_e32 v68, 34, v64                             // 00000000ED7C: 0C8880A2
	v_and_b32_e32 v65, 1, v0                                   // 00000000ED80: 26820081
	v_add_u32_e32 v68, v65, v68                                // 00000000ED84: 68888941
	s_mul_i32 s60, s7, 2                                       // 00000000ED88: 923C8207
	v_add_u32_e32 v68, s60, v68                                // 00000000ED8C: 6888883C
	v_lshlrev_b32_e32 v68, 2, v68                              // 00000000ED90: 24888882
	s_waitcnt lgkmcnt(0)                                       // 00000000ED94: BF8CC07F
	s_barrier                                                  // 00000000ED98: BF8A0000
	ds_read_b32 v216, v68 offset:41472                         // 00000000ED9C: D86CA200 D8000044
	ds_read_b32 v217, v68 offset:41504                         // 00000000EDA4: D86CA220 D9000044
	ds_read_b32 v218, v68 offset:41536                         // 00000000EDAC: D86CA240 DA000044
	ds_read_b32 v219, v68 offset:41568                         // 00000000EDB4: D86CA260 DB000044
	s_mul_i32 s60, s7, 0x100                                   // 00000000EDBC: 923CFF07 00000100
	v_lshlrev_b32_e32 v64, 2, v0                               // 00000000EDC4: 24800082
	v_add_u32_e64 v64, v64, s60                                // 00000000EDC8: D1340040 00007940
	s_waitcnt lgkmcnt(0)                                       // 00000000EDD0: BF8CC07F
	buffer_store_dword v216, v64, s[8:11], 0 offen             // 00000000EDD4: E0701000 8002D840
	buffer_store_dword v217, v64, s[8:11], 0 offen offset:1024 // 00000000EDDC: E0701400 8002D940
	buffer_store_dword v218, v64, s[8:11], 0 offen offset:2048 // 00000000EDE4: E0701800 8002DA40
	buffer_store_dword v219, v64, s[8:11], 0 offen offset:3072 // 00000000EDEC: E0701C00 8002DB40
	s_add_u32 s8, s75, s8                                      // 00000000EDF4: 8008084B
	s_addc_u32 s9, 0, s9                                       // 00000000EDF8: 82090980

000000000000edfc <label_32FF>:
	s_branch label_6300                                        // 00000000EDFC: BF823000

000000000000ee00 <label_3300>:
	s_mul_i32 s60, s3, s65                                     // 00000000EE00: 923C4103
	s_mul_i32 s60, s60, 4                                      // 00000000EE04: 923C843C
	s_add_u32 s24, s60, s24                                    // 00000000EE08: 8018183C
	s_addc_u32 s25, 0, s25                                     // 00000000EE0C: 82191980
	s_mov_b32 s56, 64                                          // 00000000EE10: BEB800C0
	s_add_u32 s73, s72, 15                                     // 00000000EE14: 80498F48
	s_lshr_b32 s73, s73, 4                                     // 00000000EE18: 8F498449
	s_mul_i32 s60, s73, 4                                      // 00000000EE1C: 923C8449
	s_mov_b32 s26, s60                                         // 00000000EE20: BE9A003C
	v_and_b32_e32 v65, 3, v0                                   // 00000000EE24: 26820083
	v_cmp_eq_u32_e64 s[60:61], 0, v65                          // 00000000EE28: D0CA003C 00028280
	v_and_b32_e32 v64, 12, v0                                  // 00000000EE30: 2680008C
	v_add_u32_e32 v1, s7, v64                                  // 00000000EE34: 68028007
	v_cndmask_b32_e64 v1, 0, v1, s[60:61]                      // 00000000EE38: D1000001 00F20280
	v_and_b32_e32 v65, 3, v0                                   // 00000000EE40: 26820083
	v_cmp_eq_u32_e64 s[60:61], 1, v65                          // 00000000EE44: D0CA003C 00028281
	v_lshrrev_b32_e32 v64, 4, v0                               // 00000000EE4C: 20800084
	v_and_b32_e32 v65, 12, v0                                  // 00000000EE50: 2682008C
	v_add_u32_e32 v64, v65, v64                                // 00000000EE54: 68808141
	v_cndmask_b32_e64 v64, 0, v64, s[60:61]                    // 00000000EE58: D1000040 00F28080
	v_add_u32_e32 v1, v1, v64                                  // 00000000EE60: 68028101
	v_lshlrev_b32_e32 v1, 2, v1                                // 00000000EE64: 24020282
	buffer_load_dword v16, v1, s[24:27], 0 offen               // 00000000EE68: E0501000 80061001
	v_add_u32_e32 v1, s56, v1                                  // 00000000EE70: 68020238
	buffer_load_dword v17, v1, s[24:27], 0 offen               // 00000000EE74: E0501000 80061101
	s_cmp_le_u32 s73, 32                                       // 00000000EE7C: BF0BA049
	s_cselect_b32 s56, 0, s56                                  // 00000000EE80: 85383880
	s_mul_i32 s60, s2, s67                                     // 00000000EE84: 923C4302
	s_mul_i32 s61, s84, s74                                    // 00000000EE88: 923D4A54
	s_add_u32 s60, s60, s61                                    // 00000000EE8C: 803C3D3C
	s_add_u32 s12, s60, s12                                    // 00000000EE90: 800C0C3C
	s_addc_u32 s13, 0, s13                                     // 00000000EE94: 820D0D80
	s_mul_i32 s60, s7, 0x108                                   // 00000000EE98: 923CFF07 00000108
	s_add_u32 m0, 0, s60                                       // 00000000EEA0: 807C3C80
	s_mul_i32 s60, s7, 0x100                                   // 00000000EEA4: 923CFF07 00000100
	v_lshlrev_b32_e32 v64, 2, v0                               // 00000000EEAC: 24800082
	v_add_u32_e64 v64, v64, s60                                // 00000000EEB0: D1340040 00007940
	v_add_u32_e32 v65, 0x400, v64                              // 00000000EEB8: 688280FF 00000400
	v_add_u32_e32 v66, 0x800, v64                              // 00000000EEC0: 688480FF 00000800
	v_add_u32_e32 v67, 0xc00, v64                              // 00000000EEC8: 688680FF 00000C00
	buffer_load_dword v64, s[12:15], 0 offen lds               // 00000000EED0: E0511000 80030040
	s_mul_i32 s60, 4, 0x108                                    // 00000000EED8: 923CFF84 00000108
	s_add_u32 m0, m0, s60                                      // 00000000EEE0: 807C3C7C
	buffer_load_dword v65, s[12:15], 0 offen lds               // 00000000EEE4: E0511000 80030041
	s_mul_i32 s60, 4, 0x108                                    // 00000000EEEC: 923CFF84 00000108
	s_add_u32 m0, m0, s60                                      // 00000000EEF4: 807C3C7C
	buffer_load_dword v66, s[12:15], 0 offen lds               // 00000000EEF8: E0511000 80030042
	s_mul_i32 s60, 4, 0x108                                    // 00000000EF00: 923CFF84 00000108
	s_add_u32 m0, m0, s60                                      // 00000000EF08: 807C3C7C
	buffer_load_dword v67, s[12:15], 0 offen lds               // 00000000EF0C: E0511000 80030043
	s_mul_i32 s60, 4, 0x108                                    // 00000000EF14: 923CFF84 00000108
	s_add_u32 m0, m0, s60                                      // 00000000EF1C: 807C3C7C
	s_add_u32 s12, s74, s12                                    // 00000000EF20: 800C0C4A
	s_addc_u32 s13, 0, s13                                     // 00000000EF24: 820D0D80
	buffer_load_dword v64, s[12:15], 0 offen lds               // 00000000EF28: E0511000 80030040
	s_mul_i32 s60, 4, 0x108                                    // 00000000EF30: 923CFF84 00000108
	s_add_u32 m0, m0, s60                                      // 00000000EF38: 807C3C7C
	buffer_load_dword v65, s[12:15], 0 offen lds               // 00000000EF3C: E0511000 80030041
	s_mul_i32 s60, 4, 0x108                                    // 00000000EF44: 923CFF84 00000108
	s_add_u32 m0, m0, s60                                      // 00000000EF4C: 807C3C7C
	buffer_load_dword v66, s[12:15], 0 offen lds               // 00000000EF50: E0511000 80030042
	s_mul_i32 s60, 4, 0x108                                    // 00000000EF58: 923CFF84 00000108
	s_add_u32 m0, m0, s60                                      // 00000000EF60: 807C3C7C
	buffer_load_dword v67, s[12:15], 0 offen lds               // 00000000EF64: E0511000 80030043
	s_mul_i32 s60, 4, 0x108                                    // 00000000EF6C: 923CFF84 00000108
	s_add_u32 m0, m0, s60                                      // 00000000EF74: 807C3C7C
	s_add_u32 s12, s74, s12                                    // 00000000EF78: 800C0C4A
	s_addc_u32 s13, 0, s13                                     // 00000000EF7C: 820D0D80
	buffer_load_dword v64, s[12:15], 0 offen lds               // 00000000EF80: E0511000 80030040
	s_mul_i32 s60, 4, 0x108                                    // 00000000EF88: 923CFF84 00000108
	s_add_u32 m0, m0, s60                                      // 00000000EF90: 807C3C7C
	buffer_load_dword v65, s[12:15], 0 offen lds               // 00000000EF94: E0511000 80030041
	s_mul_i32 s60, 4, 0x108                                    // 00000000EF9C: 923CFF84 00000108
	s_add_u32 m0, m0, s60                                      // 00000000EFA4: 807C3C7C
	buffer_load_dword v66, s[12:15], 0 offen lds               // 00000000EFA8: E0511000 80030042
	s_mul_i32 s60, 4, 0x108                                    // 00000000EFB0: 923CFF84 00000108
	s_add_u32 m0, m0, s60                                      // 00000000EFB8: 807C3C7C
	buffer_load_dword v67, s[12:15], 0 offen lds               // 00000000EFBC: E0511000 80030043
	s_mul_i32 s60, 4, 0x108                                    // 00000000EFC4: 923CFF84 00000108
	s_add_u32 m0, m0, s60                                      // 00000000EFCC: 807C3C7C
	s_add_u32 s12, s74, s12                                    // 00000000EFD0: 800C0C4A
	s_addc_u32 s13, 0, s13                                     // 00000000EFD4: 820D0D80
	v_lshrrev_b32_e32 v64, 4, v0                               // 00000000EFD8: 20800084
	v_lshlrev_b32_e32 v64, 2, v64                              // 00000000EFDC: 24808082
	v_and_b32_e32 v65, 3, v0                                   // 00000000EFE0: 26820083
	v_add_u32_e32 v64, v65, v64                                // 00000000EFE4: 68808141
	v_lshlrev_b32_e32 v59, 2, v64                              // 00000000EFE8: 24768082
	v_mov_b32_e32 v60, v59                                     // 00000000EFEC: 7E78033B
	s_mul_i32 s60, s2, 64                                      // 00000000EFF0: 923CC002
	s_add_u32 s32, s60, s32                                    // 00000000EFF4: 8020203C
	s_addc_u32 s33, 0, s33                                     // 00000000EFF8: 82212180
	s_add_u32 s36, s60, s36                                    // 00000000EFFC: 8024243C
	s_addc_u32 s37, 0, s37                                     // 00000000F000: 82252580
	s_mul_i32 s60, s2, s76                                     // 00000000F004: 923C4C02
	s_mul_i32 s61, s84, s75                                    // 00000000F008: 923D4B54
	s_add_u32 s60, s60, s61                                    // 00000000F00C: 803C3D3C
	s_add_u32 s8, s60, s8                                      // 00000000F010: 8008083C
	s_addc_u32 s9, 0, s9                                       // 00000000F014: 82090980
	s_mov_b32 s70, 0                                           // 00000000F018: BEC60080
	s_and_b32 s71, s72, 0xffffff00                             // 00000000F01C: 8647FF48 FFFFFF00
	s_mov_b32 s42, 0xff00ff00                                  // 00000000F024: BEAA00FF FF00FF00
	s_mov_b32 s43, 0xff00ff00                                  // 00000000F02C: BEAB00FF FF00FF00
	s_mov_b32 s44, 0xf0f0f0f0                                  // 00000000F034: BEAC00FF F0F0F0F0
	s_mov_b32 s45, 0xf0f0f0f0                                  // 00000000F03C: BEAD00FF F0F0F0F0
	s_mov_b32 s78, 0xff00ff                                    // 00000000F044: BECE00FF 00FF00FF
	s_mov_b32 s79, 0xff00ff                                    // 00000000F04C: BECF00FF 00FF00FF
	v_mul_i32_i24_e64 v63, 64, s66                             // 00000000F054: D106003F 000084C0
	v_mov_b32_e32 v54, s68                                     // 00000000F05C: 7E6C0244
	s_mov_b32 s52, 0x7060302                                   // 00000000F060: BEB400FF 07060302
	s_mov_b32 s53, 0x400                                       // 00000000F068: BEB500FF 00000400
	s_mov_b32 s54, 0x40100                                     // 00000000F070: BEB600FF 00040100
	s_mov_b32 s55, 0x4020100                                   // 00000000F078: BEB700FF 04020100
	s_mov_b32 s6, 0x3fb8aa3b                                   // 00000000F080: BE8600FF 3FB8AA3B
	v_mov_b32_e32 v11, 0xff800000                              // 00000000F088: 7E1602FF FF800000
	v_mov_b32_e32 v12, 0xff800000                              // 00000000F090: 7E1802FF FF800000
	v_mov_b32_e32 v49, 0                                       // 00000000F098: 7E620280
	v_mov_b32_e32 v50, 0                                       // 00000000F09C: 7E640280
	v_mov_b32_e32 v51, 0                                       // 00000000F0A0: 7E660280
	v_mov_b32_e32 v38, 0                                       // 00000000F0A4: 7E4C0280
	v_mov_b32_e32 v39, 0                                       // 00000000F0A8: 7E4E0280
	v_mov_b32_e32 v40, 0                                       // 00000000F0AC: 7E500280
	v_mov_b32_e32 v44, 0                                       // 00000000F0B0: 7E580280
	v_mov_b32_e32 v45, 0                                       // 00000000F0B4: 7E5A0280
	v_mov_b32_e32 v46, 0                                       // 00000000F0B8: 7E5C0280
	v_add_u32_e32 v1, s56, v1                                  // 00000000F0BC: 68020238
	v_and_b32_e32 v7, 15, v0                                   // 00000000F0C0: 260E008F
	v_lshlrev_b32_e32 v7, 2, v7                                // 00000000F0C4: 240E0E82
	v_lshlrev_b32_e32 v8, 2, v0                                // 00000000F0C8: 24100082
	s_mul_i32 s60, 0x100, s7                                   // 00000000F0CC: 923C07FF 00000100
	v_add_u32_e32 v8, s60, v8                                  // 00000000F0D4: 6810103C
	v_lshrrev_b32_e32 v64, 4, v0                               // 00000000F0D8: 20800084
	v_lshlrev_b32_e32 v65, 6, v64                              // 00000000F0DC: 24828086
	v_and_b32_e32 v64, 15, v0                                  // 00000000F0E0: 2680008F
	v_lshlrev_b32_e32 v64, 1, v64                              // 00000000F0E4: 24808081
	v_add_u32_e32 v65, v64, v65                                // 00000000F0E8: 68828340
	v_lshlrev_b32_e32 v9, 2, v65                               // 00000000F0EC: 24128282
	v_lshrrev_b32_e32 v64, 5, v0                               // 00000000F0F0: 20800085
	v_lshlrev_b32_e32 v65, 5, v64                              // 00000000F0F4: 24828085
	v_and_b32_e32 v64, 31, v0                                  // 00000000F0F8: 2680009F
	v_lshrrev_b32_e32 v66, 4, v64                              // 00000000F0FC: 20848084
	v_add_u32_e32 v65, v66, v65                                // 00000000F100: 68828342
	v_and_b32_e32 v64, 15, v0                                  // 00000000F104: 2680008F
	v_lshlrev_b32_e32 v64, 1, v64                              // 00000000F108: 24808081
	v_add_u32_e32 v65, v64, v65                                // 00000000F10C: 68828340
	v_lshlrev_b32_e32 v64, 2, v65                              // 00000000F110: 24808282
	s_mul_i32 s60, 0x100, s7                                   // 00000000F114: 923C07FF 00000100
	v_add_u32_e64 v10, v64, s60                                // 00000000F11C: D134000A 00007940
	v_lshlrev_b32_e32 v5, 4, v0                                // 00000000F124: 240A0084
	s_mul_i32 s60, s2, s69                                     // 00000000F128: 923C4502
	s_add_u32 s16, s60, s16                                    // 00000000F12C: 8010103C
	s_addc_u32 s17, 0, s17                                     // 00000000F130: 82111180
	v_and_b32_e32 v64, 15, v0                                  // 00000000F134: 2680008F
	v_lshlrev_b32_e32 v6, 4, v64                               // 00000000F138: 240C8084
	s_mul_i32 s61, s2, s69                                     // 00000000F13C: 923D4502
	s_mul_i32 s60, s7, 0x100                                   // 00000000F140: 923CFF07 00000100
	s_add_u32 s60, s60, s61                                    // 00000000F148: 803C3D3C
	s_add_u32 s20, s60, s20                                    // 00000000F14C: 8014143C
	s_addc_u32 s21, 0, s21                                     // 00000000F150: 82151580
	s_waitcnt vmcnt(4)                                         // 00000000F154: BF8C0F74
	v_mul_u32_u24_dpp v64, v16, v54 row_newbcast:0 row_mask:0xf bank_mask:0xf// 00000000F158: 10806CFA FF015010
	v_mul_u32_u24_dpp v65, v16, v54 row_newbcast:4 row_mask:0xf bank_mask:0xf// 00000000F160: 10826CFA FF015410
	v_mul_u32_u24_dpp v66, v16, v54 row_newbcast:8 row_mask:0xf bank_mask:0xf// 00000000F168: 10846CFA FF015810
	v_mul_u32_u24_dpp v67, v16, v54 row_newbcast:12 row_mask:0xf bank_mask:0xf// 00000000F170: 10866CFA FF015C10
	v_add_u32_e32 v22, v64, v5                                 // 00000000F178: 682C0B40
	v_add_u32_e32 v23, v65, v5                                 // 00000000F17C: 682E0B41
	v_add_u32_e32 v24, v66, v5                                 // 00000000F180: 68300B42
	v_add_u32_e32 v25, v67, v5                                 // 00000000F184: 68320B43
	v_mul_u32_u24_dpp v64, v16, v54 row_newbcast:1 row_mask:0xf bank_mask:0xf// 00000000F188: 10806CFA FF015110
	v_mul_u32_u24_dpp v65, v16, v54 row_newbcast:5 row_mask:0xf bank_mask:0xf// 00000000F190: 10826CFA FF015510
	v_mul_u32_u24_dpp v66, v16, v54 row_newbcast:9 row_mask:0xf bank_mask:0xf// 00000000F198: 10846CFA FF015910
	v_mul_u32_u24_dpp v67, v16, v54 row_newbcast:13 row_mask:0xf bank_mask:0xf// 00000000F1A0: 10866CFA FF015D10
	v_add_u32_e32 v30, v64, v6                                 // 00000000F1A8: 683C0D40
	v_add_u32_e32 v31, v65, v6                                 // 00000000F1AC: 683E0D41
	v_add_u32_e32 v32, v66, v6                                 // 00000000F1B0: 68400D42
	v_add_u32_e32 v33, v67, v6                                 // 00000000F1B4: 68420D43
	v_mul_u32_u24_dpp v64, v16, v63 quad_perm:[0,0,0,0] row_mask:0xf bank_mask:0xf// 00000000F1B8: 10807EFA FF000010
	v_add_u32_e32 v2, v64, v59                                 // 00000000F1C0: 68047740
	v_mul_u32_u24_dpp v64, v16, v63 quad_perm:[0,0,0,0] row_mask:0xf bank_mask:0xf// 00000000F1C4: 10807EFA FF000010
	v_add_u32_e32 v55, v64, v60                                // 00000000F1CC: 686E7940
	buffer_load_dword v42, v2, s[32:35], 0 offen               // 00000000F1D0: E0501000 80082A02
	buffer_load_dwordx4 a[0:3], v22, s[16:19], 0 offen         // 00000000F1D8: E05C1000 80840016
	buffer_load_dwordx4 a[4:7], v22, s[16:19], 0 offen offset:1024// 00000000F1E0: E05C1400 80840416
	buffer_load_dwordx4 a[8:11], v23, s[16:19], 0 offen        // 00000000F1E8: E05C1000 80840817
	buffer_load_dwordx4 a[12:15], v23, s[16:19], 0 offen offset:1024// 00000000F1F0: E05C1400 80840C17
	buffer_load_dwordx4 a[16:19], v24, s[16:19], 0 offen       // 00000000F1F8: E05C1000 80841018
	buffer_load_dwordx4 a[20:23], v24, s[16:19], 0 offen offset:1024// 00000000F200: E05C1400 80841418
	buffer_load_dwordx4 a[24:27], v25, s[16:19], 0 offen       // 00000000F208: E05C1000 80841819
	buffer_load_dwordx4 a[28:31], v25, s[16:19], 0 offen offset:1024// 00000000F210: E05C1400 80841C19
	buffer_load_dword v57, v55, s[36:39], 0 offen              // 00000000F218: E0501000 80093937
	buffer_load_dwordx4 a[64:67], v30, s[20:23], 0 offen       // 00000000F220: E05C1000 8085401E
	buffer_load_dwordx4 a[68:71], v31, s[20:23], 0 offen       // 00000000F228: E05C1000 8085441F
	buffer_load_dwordx4 a[72:75], v32, s[20:23], 0 offen       // 00000000F230: E05C1000 80854820
	buffer_load_dwordx4 a[76:79], v33, s[20:23], 0 offen       // 00000000F238: E05C1000 80854C21
	buffer_load_dwordx4 a[80:83], v30, s[20:23], 0 offen offset:1024// 00000000F240: E05C1400 8085501E
	buffer_load_dwordx4 a[84:87], v31, s[20:23], 0 offen offset:1024// 00000000F248: E05C1400 8085541F
	buffer_load_dwordx4 a[88:91], v32, s[20:23], 0 offen offset:1024// 00000000F250: E05C1400 80855820
	buffer_load_dwordx4 a[92:95], v33, s[20:23], 0 offen offset:1024// 00000000F258: E05C1400 80855C21
	v_lshrrev_b32_e32 v64, 4, v0                               // 00000000F260: 20800084
	v_lshlrev_b32_e32 v65, 1, v64                              // 00000000F264: 24828081
	v_and_b32_e32 v64, 15, v0                                  // 00000000F268: 2680008F
	v_mul_i32_i24_e32 v64, 0x42, v64                           // 00000000F26C: 0C8080FF 00000042
	v_add_u32_e32 v65, v64, v65                                // 00000000F274: 68828340
	v_lshlrev_b32_e32 v4, 2, v65                               // 00000000F278: 24088282
	s_mul_i32 s60, s7, 32                                      // 00000000F27C: 923CA007
	v_add_u32_e32 v4, s60, v4                                  // 00000000F280: 6808083C
	s_waitcnt vmcnt(16) lgkmcnt(0)                             // 00000000F284: BF8C4070
	s_barrier                                                  // 00000000F288: BF8A0000
	ds_read_b64 v[80:81], v4                                   // 00000000F28C: D8EC0000 50000004
	ds_read_b64 v[84:85], v4 offset:128                        // 00000000F294: D8EC0080 54000004
	s_waitcnt lgkmcnt(0)                                       // 00000000F29C: BF8CC07F
	v_and_b32_e32 v83, 0xffff0000, v81                         // 00000000F2A0: 26A6A2FF FFFF0000
	v_lshlrev_b32_e32 v82, 16, v81                             // 00000000F2A8: 24A4A290
	v_and_b32_e32 v81, 0xffff0000, v80                         // 00000000F2AC: 26A2A0FF FFFF0000
	v_lshlrev_b32_e32 v80, 16, v80                             // 00000000F2B4: 24A0A090
	v_and_b32_e32 v87, 0xffff0000, v85                         // 00000000F2B8: 26AEAAFF FFFF0000
	v_lshlrev_b32_e32 v86, 16, v85                             // 00000000F2C0: 24ACAA90
	v_and_b32_e32 v85, 0xffff0000, v84                         // 00000000F2C4: 26AAA8FF FFFF0000
	v_lshlrev_b32_e32 v84, 16, v84                             // 00000000F2CC: 24A8A890
	v_mov_b32_e32 v48, 0x358637bd                              // 00000000F2D0: 7E6002FF 358637BD
	v_max3_f32 v48, |v80|, |v81|, v48                          // 00000000F2D8: D1D30330 04C2A350
	v_max3_f32 v48, |v82|, |v83|, v48                          // 00000000F2E0: D1D30330 04C2A752
	v_max3_f32 v48, |v84|, |v85|, v48                          // 00000000F2E8: D1D30330 04C2AB54
	v_max3_f32 v48, |v86|, |v87|, v48                          // 00000000F2F0: D1D30330 04C2AF56
	ds_write_b32 v8, v48 offset:16896                          // 00000000F2F8: D81A4200 00003008
	s_waitcnt lgkmcnt(0)                                       // 00000000F300: BF8CC07F
	s_barrier                                                  // 00000000F304: BF8A0000
	ds_read_b32 v64, v7 offset:16896                           // 00000000F308: D86C4200 40000007
	ds_read_b32 v65, v7 offset:16960                           // 00000000F310: D86C4240 41000007
	ds_read_b32 v66, v7 offset:17024                           // 00000000F318: D86C4280 42000007
	ds_read_b32 v67, v7 offset:17088                           // 00000000F320: D86C42C0 43000007
	ds_read_b32 v68, v7 offset:17152                           // 00000000F328: D86C4300 44000007
	ds_read_b32 v69, v7 offset:17216                           // 00000000F330: D86C4340 45000007
	ds_read_b32 v70, v7 offset:17280                           // 00000000F338: D86C4380 46000007
	ds_read_b32 v71, v7 offset:17344                           // 00000000F340: D86C43C0 47000007
	ds_read_b32 v72, v7 offset:17408                           // 00000000F348: D86C4400 48000007
	ds_read_b32 v73, v7 offset:17472                           // 00000000F350: D86C4440 49000007
	ds_read_b32 v74, v7 offset:17536                           // 00000000F358: D86C4480 4A000007
	ds_read_b32 v75, v7 offset:17600                           // 00000000F360: D86C44C0 4B000007
	ds_read_b32 v76, v7 offset:17664                           // 00000000F368: D86C4500 4C000007
	ds_read_b32 v77, v7 offset:17728                           // 00000000F370: D86C4540 4D000007
	ds_read_b32 v78, v7 offset:17792                           // 00000000F378: D86C4580 4E000007
	ds_read_b32 v79, v7 offset:17856                           // 00000000F380: D86C45C0 4F000007
	s_waitcnt lgkmcnt(0)                                       // 00000000F388: BF8CC07F
	v_max3_f32 v48, |v64|, |v65|, v48                          // 00000000F38C: D1D30330 04C28340
	v_max3_f32 v48, |v66|, |v67|, v48                          // 00000000F394: D1D30330 04C28742
	v_max3_f32 v48, |v68|, |v69|, v48                          // 00000000F39C: D1D30330 04C28B44
	v_max3_f32 v48, |v70|, |v71|, v48                          // 00000000F3A4: D1D30330 04C28F46
	v_max3_f32 v48, |v72|, |v73|, v48                          // 00000000F3AC: D1D30330 04C29348
	v_max3_f32 v48, |v74|, |v75|, v48                          // 00000000F3B4: D1D30330 04C2974A
	v_max3_f32 v48, |v76|, |v77|, v48                          // 00000000F3BC: D1D30330 04C29B4C
	v_max3_f32 v48, |v78|, |v79|, v48                          // 00000000F3C4: D1D30330 04C29F4E
	v_rcp_f32_e32 v48, v48                                     // 00000000F3CC: 7E604530
	s_nop 1                                                    // 00000000F3D0: BF800001
	v_mul_f32_e32 v48, 0x42fe0000, v48                         // 00000000F3D4: 0A6060FF 42FE0000
	v_mul_f32_e32 v80, v48, v80                                // 00000000F3DC: 0AA0A130
	v_mul_f32_e32 v81, v48, v81                                // 00000000F3E0: 0AA2A330
	v_mul_f32_e32 v82, v48, v82                                // 00000000F3E4: 0AA4A530
	v_mul_f32_e32 v83, v48, v83                                // 00000000F3E8: 0AA6A730
	v_mul_f32_e32 v84, v48, v84                                // 00000000F3EC: 0AA8A930
	v_mul_f32_e32 v85, v48, v85                                // 00000000F3F0: 0AAAAB30
	v_mul_f32_e32 v86, v48, v86                                // 00000000F3F4: 0AACAD30
	v_mul_f32_e32 v87, v48, v87                                // 00000000F3F8: 0AAEAF30
	v_cvt_i32_f32_e32 v80, v80                                 // 00000000F3FC: 7EA01150
	v_cvt_i32_f32_e32 v81, v81                                 // 00000000F400: 7EA21151
	v_cvt_i32_f32_e32 v82, v82                                 // 00000000F404: 7EA41152
	v_cvt_i32_f32_e32 v83, v83                                 // 00000000F408: 7EA61153
	v_cvt_i32_f32_e32 v84, v84                                 // 00000000F40C: 7EA81154
	v_cvt_i32_f32_e32 v85, v85                                 // 00000000F410: 7EAA1155
	v_cvt_i32_f32_e32 v86, v86                                 // 00000000F414: 7EAC1156
	v_cvt_i32_f32_e32 v87, v87                                 // 00000000F418: 7EAE1157
	v_rcp_f32_e32 v18, v48                                     // 00000000F41C: 7E244530
	v_perm_b32 v80, v81, v80, s53                              // 00000000F420: D1ED0050 00D6A151
	v_perm_b32 v80, v82, v80, s54                              // 00000000F428: D1ED0050 00DAA152
	v_perm_b32 v80, v83, v80, s55                              // 00000000F430: D1ED0050 00DEA153
	v_perm_b32 v81, v85, v84, s53                              // 00000000F438: D1ED0051 00D6A955
	v_perm_b32 v81, v86, v81, s54                              // 00000000F440: D1ED0051 00DAA356
	v_perm_b32 v81, v87, v81, s55                              // 00000000F448: D1ED0051 00DEA357
	ds_write_b32 v10, v80 offset:25088                         // 00000000F450: D81A6200 0000500A
	ds_write_b32 v10, v81 offset:26112                         // 00000000F458: D81A6600 0000510A
	s_waitcnt lgkmcnt(0)                                       // 00000000F460: BF8CC07F
	s_barrier                                                  // 00000000F464: BF8A0000
	ds_read_b64 v[80:81], v9 offset:25088                      // 00000000F468: D8EC6200 50000009
	ds_read_b64 v[82:83], v9 offset:25216                      // 00000000F470: D8EC6280 52000009
	ds_read_b64 v[84:85], v9 offset:26112                      // 00000000F478: D8EC6600 54000009
	ds_read_b64 v[86:87], v9 offset:26240                      // 00000000F480: D8EC6680 56000009
	v_mov_b32_e32 v208, 0                                      // 00000000F488: 7FA00280
	v_mov_b32_e32 v209, 0                                      // 00000000F48C: 7FA20280
	v_mov_b32_e32 v210, 0                                      // 00000000F490: 7FA40280
	v_mov_b32_e32 v211, 0                                      // 00000000F494: 7FA60280
	v_mov_b32_e32 v212, 0                                      // 00000000F498: 7FA80280
	v_mov_b32_e32 v213, 0                                      // 00000000F49C: 7FAA0280
	v_mov_b32_e32 v214, 0                                      // 00000000F4A0: 7FAC0280
	v_mov_b32_e32 v215, 0                                      // 00000000F4A4: 7FAE0280
	v_mov_b32_e32 v176, 0                                      // 00000000F4A8: 7F600280
	v_mov_b32_e32 v177, 0                                      // 00000000F4AC: 7F620280
	v_mov_b32_e32 v178, 0                                      // 00000000F4B0: 7F640280
	v_mov_b32_e32 v179, 0                                      // 00000000F4B4: 7F660280
	v_mov_b32_e32 v180, 0                                      // 00000000F4B8: 7F680280
	v_mov_b32_e32 v181, 0                                      // 00000000F4BC: 7F6A0280
	v_mov_b32_e32 v182, 0                                      // 00000000F4C0: 7F6C0280
	v_mov_b32_e32 v183, 0                                      // 00000000F4C4: 7F6E0280
	ds_read_b64 v[88:89], v4 offset:4224                       // 00000000F4C8: D8EC1080 58000004
	ds_read_b64 v[92:93], v4 offset:4352                       // 00000000F4D0: D8EC1100 5C000004
	s_waitcnt lgkmcnt(0)                                       // 00000000F4D8: BF8CC07F
	v_and_b32_e32 v91, 0xffff0000, v89                         // 00000000F4DC: 26B6B2FF FFFF0000
	v_lshlrev_b32_e32 v90, 16, v89                             // 00000000F4E4: 24B4B290
	v_and_b32_e32 v89, 0xffff0000, v88                         // 00000000F4E8: 26B2B0FF FFFF0000
	v_lshlrev_b32_e32 v88, 16, v88                             // 00000000F4F0: 24B0B090
	v_and_b32_e32 v95, 0xffff0000, v93                         // 00000000F4F4: 26BEBAFF FFFF0000
	v_lshlrev_b32_e32 v94, 16, v93                             // 00000000F4FC: 24BCBA90
	v_and_b32_e32 v93, 0xffff0000, v92                         // 00000000F500: 26BAB8FF FFFF0000
	v_lshlrev_b32_e32 v92, 16, v92                             // 00000000F508: 24B8B890
	v_mov_b32_e32 v48, 0x358637bd                              // 00000000F50C: 7E6002FF 358637BD
	v_max3_f32 v48, |v88|, |v89|, v48                          // 00000000F514: D1D30330 04C2B358
	v_max3_f32 v48, |v90|, |v91|, v48                          // 00000000F51C: D1D30330 04C2B75A
	v_max3_f32 v48, |v92|, |v93|, v48                          // 00000000F524: D1D30330 04C2BB5C
	v_max3_f32 v48, |v94|, |v95|, v48                          // 00000000F52C: D1D30330 04C2BF5E
	ds_write_b32 v8, v48 offset:16896                          // 00000000F534: D81A4200 00003008
	s_waitcnt lgkmcnt(0)                                       // 00000000F53C: BF8CC07F
	s_barrier                                                  // 00000000F540: BF8A0000
	ds_read_b32 v64, v7 offset:16896                           // 00000000F544: D86C4200 40000007
	ds_read_b32 v65, v7 offset:16960                           // 00000000F54C: D86C4240 41000007
	ds_read_b32 v66, v7 offset:17024                           // 00000000F554: D86C4280 42000007
	ds_read_b32 v67, v7 offset:17088                           // 00000000F55C: D86C42C0 43000007
	ds_read_b32 v68, v7 offset:17152                           // 00000000F564: D86C4300 44000007
	ds_read_b32 v69, v7 offset:17216                           // 00000000F56C: D86C4340 45000007
	ds_read_b32 v70, v7 offset:17280                           // 00000000F574: D86C4380 46000007
	ds_read_b32 v71, v7 offset:17344                           // 00000000F57C: D86C43C0 47000007
	ds_read_b32 v72, v7 offset:17408                           // 00000000F584: D86C4400 48000007
	ds_read_b32 v73, v7 offset:17472                           // 00000000F58C: D86C4440 49000007
	ds_read_b32 v74, v7 offset:17536                           // 00000000F594: D86C4480 4A000007
	ds_read_b32 v75, v7 offset:17600                           // 00000000F59C: D86C44C0 4B000007
	ds_read_b32 v76, v7 offset:17664                           // 00000000F5A4: D86C4500 4C000007
	ds_read_b32 v77, v7 offset:17728                           // 00000000F5AC: D86C4540 4D000007
	ds_read_b32 v78, v7 offset:17792                           // 00000000F5B4: D86C4580 4E000007
	ds_read_b32 v79, v7 offset:17856                           // 00000000F5BC: D86C45C0 4F000007
	s_waitcnt lgkmcnt(0)                                       // 00000000F5C4: BF8CC07F
	v_max3_f32 v48, |v64|, |v65|, v48                          // 00000000F5C8: D1D30330 04C28340
	v_max3_f32 v48, |v66|, |v67|, v48                          // 00000000F5D0: D1D30330 04C28742
	v_max3_f32 v48, |v68|, |v69|, v48                          // 00000000F5D8: D1D30330 04C28B44
	v_max3_f32 v48, |v70|, |v71|, v48                          // 00000000F5E0: D1D30330 04C28F46
	v_max3_f32 v48, |v72|, |v73|, v48                          // 00000000F5E8: D1D30330 04C29348
	v_max3_f32 v48, |v74|, |v75|, v48                          // 00000000F5F0: D1D30330 04C2974A
	v_max3_f32 v48, |v76|, |v77|, v48                          // 00000000F5F8: D1D30330 04C29B4C
	v_max3_f32 v48, |v78|, |v79|, v48                          // 00000000F600: D1D30330 04C29F4E
	v_rcp_f32_e32 v48, v48                                     // 00000000F608: 7E604530
	s_nop 1                                                    // 00000000F60C: BF800001
	v_mul_f32_e32 v48, 0x42fe0000, v48                         // 00000000F610: 0A6060FF 42FE0000
	v_mul_f32_e32 v88, v48, v88                                // 00000000F618: 0AB0B130
	v_mul_f32_e32 v89, v48, v89                                // 00000000F61C: 0AB2B330
	v_mul_f32_e32 v90, v48, v90                                // 00000000F620: 0AB4B530
	v_mul_f32_e32 v91, v48, v91                                // 00000000F624: 0AB6B730
	v_mul_f32_e32 v92, v48, v92                                // 00000000F628: 0AB8B930
	v_mul_f32_e32 v93, v48, v93                                // 00000000F62C: 0ABABB30
	v_mul_f32_e32 v94, v48, v94                                // 00000000F630: 0ABCBD30
	v_mul_f32_e32 v95, v48, v95                                // 00000000F634: 0ABEBF30
	v_cvt_i32_f32_e32 v88, v88                                 // 00000000F638: 7EB01158
	v_cvt_i32_f32_e32 v89, v89                                 // 00000000F63C: 7EB21159
	v_cvt_i32_f32_e32 v90, v90                                 // 00000000F640: 7EB4115A
	v_cvt_i32_f32_e32 v91, v91                                 // 00000000F644: 7EB6115B
	v_cvt_i32_f32_e32 v92, v92                                 // 00000000F648: 7EB8115C
	v_cvt_i32_f32_e32 v93, v93                                 // 00000000F64C: 7EBA115D
	v_cvt_i32_f32_e32 v94, v94                                 // 00000000F650: 7EBC115E
	v_cvt_i32_f32_e32 v95, v95                                 // 00000000F654: 7EBE115F
	v_rcp_f32_e32 v19, v48                                     // 00000000F658: 7E264530
	v_perm_b32 v88, v89, v88, s53                              // 00000000F65C: D1ED0058 00D6B159
	v_perm_b32 v88, v90, v88, s54                              // 00000000F664: D1ED0058 00DAB15A
	v_perm_b32 v88, v91, v88, s55                              // 00000000F66C: D1ED0058 00DEB15B
	v_perm_b32 v89, v93, v92, s53                              // 00000000F674: D1ED0059 00D6B95D
	v_perm_b32 v89, v94, v89, s54                              // 00000000F67C: D1ED0059 00DAB35E
	v_perm_b32 v89, v95, v89, s55                              // 00000000F684: D1ED0059 00DEB35F
	ds_write_b32 v10, v88 offset:25088                         // 00000000F68C: D81A6200 0000580A
	ds_write_b32 v10, v89 offset:26112                         // 00000000F694: D81A6600 0000590A
	s_waitcnt lgkmcnt(0)                                       // 00000000F69C: BF8CC07F
	s_barrier                                                  // 00000000F6A0: BF8A0000
	ds_read_b64 v[88:89], v9 offset:25088                      // 00000000F6A4: D8EC6200 58000009
	ds_read_b64 v[90:91], v9 offset:25216                      // 00000000F6AC: D8EC6280 5A000009
	ds_read_b64 v[92:93], v9 offset:26112                      // 00000000F6B4: D8EC6600 5C000009
	ds_read_b64 v[94:95], v9 offset:26240                      // 00000000F6BC: D8EC6680 5E000009
	v_mov_b32_e32 v216, 0                                      // 00000000F6C4: 7FB00280
	v_mov_b32_e32 v217, 0                                      // 00000000F6C8: 7FB20280
	v_mov_b32_e32 v218, 0                                      // 00000000F6CC: 7FB40280
	v_mov_b32_e32 v219, 0                                      // 00000000F6D0: 7FB60280
	v_mov_b32_e32 v220, 0                                      // 00000000F6D4: 7FB80280
	v_mov_b32_e32 v221, 0                                      // 00000000F6D8: 7FBA0280
	v_mov_b32_e32 v222, 0                                      // 00000000F6DC: 7FBC0280
	v_mov_b32_e32 v223, 0                                      // 00000000F6E0: 7FBE0280
	v_mov_b32_e32 v184, 0                                      // 00000000F6E4: 7F700280
	v_mov_b32_e32 v185, 0                                      // 00000000F6E8: 7F720280
	v_mov_b32_e32 v186, 0                                      // 00000000F6EC: 7F740280
	v_mov_b32_e32 v187, 0                                      // 00000000F6F0: 7F760280
	v_mov_b32_e32 v188, 0                                      // 00000000F6F4: 7F780280
	v_mov_b32_e32 v189, 0                                      // 00000000F6F8: 7F7A0280
	v_mov_b32_e32 v190, 0                                      // 00000000F6FC: 7F7C0280
	v_mov_b32_e32 v191, 0                                      // 00000000F700: 7F7E0280
	ds_read_b64 v[96:97], v4 offset:8448                       // 00000000F704: D8EC2100 60000004
	ds_read_b64 v[100:101], v4 offset:8576                     // 00000000F70C: D8EC2180 64000004
	s_waitcnt lgkmcnt(0)                                       // 00000000F714: BF8CC07F
	v_and_b32_e32 v99, 0xffff0000, v97                         // 00000000F718: 26C6C2FF FFFF0000
	v_lshlrev_b32_e32 v98, 16, v97                             // 00000000F720: 24C4C290
	v_and_b32_e32 v97, 0xffff0000, v96                         // 00000000F724: 26C2C0FF FFFF0000
	v_lshlrev_b32_e32 v96, 16, v96                             // 00000000F72C: 24C0C090
	v_and_b32_e32 v103, 0xffff0000, v101                       // 00000000F730: 26CECAFF FFFF0000
	v_lshlrev_b32_e32 v102, 16, v101                           // 00000000F738: 24CCCA90
	v_and_b32_e32 v101, 0xffff0000, v100                       // 00000000F73C: 26CAC8FF FFFF0000
	v_lshlrev_b32_e32 v100, 16, v100                           // 00000000F744: 24C8C890
	v_mov_b32_e32 v48, 0x358637bd                              // 00000000F748: 7E6002FF 358637BD
	v_max3_f32 v48, |v96|, |v97|, v48                          // 00000000F750: D1D30330 04C2C360
	v_max3_f32 v48, |v98|, |v99|, v48                          // 00000000F758: D1D30330 04C2C762
	v_max3_f32 v48, |v100|, |v101|, v48                        // 00000000F760: D1D30330 04C2CB64
	v_max3_f32 v48, |v102|, |v103|, v48                        // 00000000F768: D1D30330 04C2CF66
	ds_write_b32 v8, v48 offset:16896                          // 00000000F770: D81A4200 00003008
	s_waitcnt lgkmcnt(0)                                       // 00000000F778: BF8CC07F
	s_barrier                                                  // 00000000F77C: BF8A0000
	ds_read_b32 v64, v7 offset:16896                           // 00000000F780: D86C4200 40000007
	ds_read_b32 v65, v7 offset:16960                           // 00000000F788: D86C4240 41000007
	ds_read_b32 v66, v7 offset:17024                           // 00000000F790: D86C4280 42000007
	ds_read_b32 v67, v7 offset:17088                           // 00000000F798: D86C42C0 43000007
	ds_read_b32 v68, v7 offset:17152                           // 00000000F7A0: D86C4300 44000007
	ds_read_b32 v69, v7 offset:17216                           // 00000000F7A8: D86C4340 45000007
	ds_read_b32 v70, v7 offset:17280                           // 00000000F7B0: D86C4380 46000007
	ds_read_b32 v71, v7 offset:17344                           // 00000000F7B8: D86C43C0 47000007
	ds_read_b32 v72, v7 offset:17408                           // 00000000F7C0: D86C4400 48000007
	ds_read_b32 v73, v7 offset:17472                           // 00000000F7C8: D86C4440 49000007
	ds_read_b32 v74, v7 offset:17536                           // 00000000F7D0: D86C4480 4A000007
	ds_read_b32 v75, v7 offset:17600                           // 00000000F7D8: D86C44C0 4B000007
	ds_read_b32 v76, v7 offset:17664                           // 00000000F7E0: D86C4500 4C000007
	ds_read_b32 v77, v7 offset:17728                           // 00000000F7E8: D86C4540 4D000007
	ds_read_b32 v78, v7 offset:17792                           // 00000000F7F0: D86C4580 4E000007
	ds_read_b32 v79, v7 offset:17856                           // 00000000F7F8: D86C45C0 4F000007
	s_waitcnt lgkmcnt(0)                                       // 00000000F800: BF8CC07F
	v_max3_f32 v48, |v64|, |v65|, v48                          // 00000000F804: D1D30330 04C28340
	v_max3_f32 v48, |v66|, |v67|, v48                          // 00000000F80C: D1D30330 04C28742
	v_max3_f32 v48, |v68|, |v69|, v48                          // 00000000F814: D1D30330 04C28B44
	v_max3_f32 v48, |v70|, |v71|, v48                          // 00000000F81C: D1D30330 04C28F46
	v_max3_f32 v48, |v72|, |v73|, v48                          // 00000000F824: D1D30330 04C29348
	v_max3_f32 v48, |v74|, |v75|, v48                          // 00000000F82C: D1D30330 04C2974A
	v_max3_f32 v48, |v76|, |v77|, v48                          // 00000000F834: D1D30330 04C29B4C
	v_max3_f32 v48, |v78|, |v79|, v48                          // 00000000F83C: D1D30330 04C29F4E
	v_rcp_f32_e32 v48, v48                                     // 00000000F844: 7E604530
	s_nop 1                                                    // 00000000F848: BF800001
	v_mul_f32_e32 v48, 0x42fe0000, v48                         // 00000000F84C: 0A6060FF 42FE0000
	v_mul_f32_e32 v96, v48, v96                                // 00000000F854: 0AC0C130
	v_mul_f32_e32 v97, v48, v97                                // 00000000F858: 0AC2C330
	v_mul_f32_e32 v98, v48, v98                                // 00000000F85C: 0AC4C530
	v_mul_f32_e32 v99, v48, v99                                // 00000000F860: 0AC6C730
	v_mul_f32_e32 v100, v48, v100                              // 00000000F864: 0AC8C930
	v_mul_f32_e32 v101, v48, v101                              // 00000000F868: 0ACACB30
	v_mul_f32_e32 v102, v48, v102                              // 00000000F86C: 0ACCCD30
	v_mul_f32_e32 v103, v48, v103                              // 00000000F870: 0ACECF30
	v_cvt_i32_f32_e32 v96, v96                                 // 00000000F874: 7EC01160
	v_cvt_i32_f32_e32 v97, v97                                 // 00000000F878: 7EC21161
	v_cvt_i32_f32_e32 v98, v98                                 // 00000000F87C: 7EC41162
	v_cvt_i32_f32_e32 v99, v99                                 // 00000000F880: 7EC61163
	v_cvt_i32_f32_e32 v100, v100                               // 00000000F884: 7EC81164
	v_cvt_i32_f32_e32 v101, v101                               // 00000000F888: 7ECA1165
	v_cvt_i32_f32_e32 v102, v102                               // 00000000F88C: 7ECC1166
	v_cvt_i32_f32_e32 v103, v103                               // 00000000F890: 7ECE1167
	v_rcp_f32_e32 v20, v48                                     // 00000000F894: 7E284530
	v_perm_b32 v96, v97, v96, s53                              // 00000000F898: D1ED0060 00D6C161
	v_perm_b32 v96, v98, v96, s54                              // 00000000F8A0: D1ED0060 00DAC162
	v_perm_b32 v96, v99, v96, s55                              // 00000000F8A8: D1ED0060 00DEC163
	v_perm_b32 v97, v101, v100, s53                            // 00000000F8B0: D1ED0061 00D6C965
	v_perm_b32 v97, v102, v97, s54                             // 00000000F8B8: D1ED0061 00DAC366
	v_perm_b32 v97, v103, v97, s55                             // 00000000F8C0: D1ED0061 00DEC367
	ds_write_b32 v10, v96 offset:25088                         // 00000000F8C8: D81A6200 0000600A
	ds_write_b32 v10, v97 offset:26112                         // 00000000F8D0: D81A6600 0000610A
	s_waitcnt lgkmcnt(0)                                       // 00000000F8D8: BF8CC07F
	s_barrier                                                  // 00000000F8DC: BF8A0000
	ds_read_b64 v[96:97], v9 offset:25088                      // 00000000F8E0: D8EC6200 60000009
	ds_read_b64 v[98:99], v9 offset:25216                      // 00000000F8E8: D8EC6280 62000009
	ds_read_b64 v[100:101], v9 offset:26112                    // 00000000F8F0: D8EC6600 64000009
	ds_read_b64 v[102:103], v9 offset:26240                    // 00000000F8F8: D8EC6680 66000009
	v_mov_b32_e32 v224, 0                                      // 00000000F900: 7FC00280
	v_mov_b32_e32 v225, 0                                      // 00000000F904: 7FC20280
	v_mov_b32_e32 v226, 0                                      // 00000000F908: 7FC40280
	v_mov_b32_e32 v227, 0                                      // 00000000F90C: 7FC60280
	v_mov_b32_e32 v228, 0                                      // 00000000F910: 7FC80280
	v_mov_b32_e32 v229, 0                                      // 00000000F914: 7FCA0280
	v_mov_b32_e32 v230, 0                                      // 00000000F918: 7FCC0280
	v_mov_b32_e32 v231, 0                                      // 00000000F91C: 7FCE0280
	v_mov_b32_e32 v192, 0                                      // 00000000F920: 7F800280
	v_mov_b32_e32 v193, 0                                      // 00000000F924: 7F820280
	v_mov_b32_e32 v194, 0                                      // 00000000F928: 7F840280
	v_mov_b32_e32 v195, 0                                      // 00000000F92C: 7F860280
	v_mov_b32_e32 v196, 0                                      // 00000000F930: 7F880280
	v_mov_b32_e32 v197, 0                                      // 00000000F934: 7F8A0280
	v_mov_b32_e32 v198, 0                                      // 00000000F938: 7F8C0280
	v_mov_b32_e32 v199, 0                                      // 00000000F93C: 7F8E0280
	s_waitcnt vmcnt(8) lgkmcnt(0)                              // 00000000F940: BF8C0078
	s_barrier                                                  // 00000000F944: BF8A0000
	s_cmp_lt_u32 s73, 16                                       // 00000000F948: BF0A9049
	s_cbranch_scc1 label_50F3                                  // 00000000F94C: BF851B1F
	s_cmp_lt_i32 s7, 2                                         // 00000000F950: BF048207
	s_cbranch_scc0 label_4366                                  // 00000000F954: BF840D90

000000000000f958 <label_35D6>:
	s_waitcnt vmcnt(8) lgkmcnt(0)                              // 00000000F958: BF8C0078
	v_mul_u32_u24_dpp v64, v17, v54 row_newbcast:0 row_mask:0xf bank_mask:0xf// 00000000F95C: 10806CFA FF015011
	v_mul_u32_u24_dpp v65, v17, v54 row_newbcast:4 row_mask:0xf bank_mask:0xf// 00000000F964: 10826CFA FF015411
	v_mul_u32_u24_dpp v66, v17, v54 row_newbcast:8 row_mask:0xf bank_mask:0xf// 00000000F96C: 10846CFA FF015811
	v_mul_u32_u24_dpp v67, v17, v54 row_newbcast:12 row_mask:0xf bank_mask:0xf// 00000000F974: 10866CFA FF015C11
	v_add_u32_e32 v26, v64, v5                                 // 00000000F97C: 68340B40
	v_add_u32_e32 v27, v65, v5                                 // 00000000F980: 68360B41
	v_add_u32_e32 v28, v66, v5                                 // 00000000F984: 68380B42
	v_add_u32_e32 v29, v67, v5                                 // 00000000F988: 683A0B43
	v_mul_u32_u24_dpp v64, v17, v63 quad_perm:[0,0,0,0] row_mask:0xf bank_mask:0xf// 00000000F98C: 10807EFA FF000011
	v_add_u32_e32 v3, v64, v59                                 // 00000000F994: 68067740
	v_mul_u32_u24_dpp v64, v17, v63 quad_perm:[0,0,0,0] row_mask:0xf bank_mask:0xf// 00000000F998: 10807EFA FF000011
	v_add_u32_e32 v56, v64, v60                                // 00000000F9A0: 68707940
	v_mfma_i32_16x16x32_i8 v[112:115], a[0:1], v[80:81], 0     // 00000000F9A4: D3D70070 0A02A100
	v_mfma_i32_16x16x32_i8 v[112:115], a[2:3], v[82:83], v[112:115]// 00000000F9AC: D3D70070 0DC2A502
	buffer_load_dwordx4 a[32:35], v26, s[16:19], 0 offen       // 00000000F9B4: E05C1000 8084201A
	v_mfma_i32_16x16x32_i8 v[112:115], a[4:5], v[84:85], v[112:115]// 00000000F9BC: D3D70070 0DC2A904
	v_mfma_i32_16x16x32_i8 v[112:115], a[6:7], v[86:87], v[112:115]// 00000000F9C4: D3D70070 0DC2AD06
	buffer_load_dword v16, v1, s[24:27], 0 offen               // 00000000F9CC: E0501000 80061001
	v_mfma_i32_16x16x32_i8 v[116:119], a[8:9], v[80:81], 0     // 00000000F9D4: D3D70074 0A02A108
	v_mfma_i32_16x16x32_i8 v[116:119], a[10:11], v[82:83], v[116:119]// 00000000F9DC: D3D70074 0DD2A50A
	buffer_load_dwordx4 a[36:39], v26, s[16:19], 0 offen offset:1024// 00000000F9E4: E05C1400 8084241A
	v_mfma_i32_16x16x32_i8 v[116:119], a[12:13], v[84:85], v[116:119]// 00000000F9EC: D3D70074 0DD2A90C
	v_mfma_i32_16x16x32_i8 v[116:119], a[14:15], v[86:87], v[116:119]// 00000000F9F4: D3D70074 0DD2AD0E
	v_mfma_i32_16x16x32_i8 v[120:123], a[16:17], v[80:81], 0   // 00000000F9FC: D3D70078 0A02A110
	v_mfma_i32_16x16x32_i8 v[120:123], a[18:19], v[82:83], v[120:123]// 00000000FA04: D3D70078 0DE2A512
	buffer_load_dwordx4 a[40:43], v27, s[16:19], 0 offen       // 00000000FA0C: E05C1000 8084281B
	v_mfma_i32_16x16x32_i8 v[120:123], a[20:21], v[84:85], v[120:123]// 00000000FA14: D3D70078 0DE2A914
	v_mfma_i32_16x16x32_i8 v[120:123], a[22:23], v[86:87], v[120:123]// 00000000FA1C: D3D70078 0DE2AD16
	v_mfma_i32_16x16x32_i8 v[124:127], a[24:25], v[80:81], 0   // 00000000FA24: D3D7007C 0A02A118
	v_mfma_i32_16x16x32_i8 v[124:127], a[26:27], v[82:83], v[124:127]// 00000000FA2C: D3D7007C 0DF2A51A
	buffer_load_dwordx4 a[44:47], v27, s[16:19], 0 offen offset:1024// 00000000FA34: E05C1400 80842C1B
	v_mfma_i32_16x16x32_i8 v[124:127], a[28:29], v[84:85], v[124:127]// 00000000FA3C: D3D7007C 0DF2A91C
	v_mfma_i32_16x16x32_i8 v[124:127], a[30:31], v[86:87], v[124:127]// 00000000FA44: D3D7007C 0DF2AD1E
	v_mfma_i32_16x16x32_i8 v[128:131], a[0:1], v[88:89], 0     // 00000000FA4C: D3D70080 0A02B100
	v_mfma_i32_16x16x32_i8 v[128:131], a[2:3], v[90:91], v[128:131]// 00000000FA54: D3D70080 0E02B502
	v_mfma_i32_16x16x32_i8 v[128:131], a[4:5], v[92:93], v[128:131]// 00000000FA5C: D3D70080 0E02B904
	v_mfma_i32_16x16x32_i8 v[128:131], a[6:7], v[94:95], v[128:131]// 00000000FA64: D3D70080 0E02BD06
	v_mfma_i32_16x16x32_i8 v[132:135], a[8:9], v[88:89], 0     // 00000000FA6C: D3D70084 0A02B108
	v_mfma_i32_16x16x32_i8 v[132:135], a[10:11], v[90:91], v[132:135]// 00000000FA74: D3D70084 0E12B50A
	v_mfma_i32_16x16x32_i8 v[132:135], a[12:13], v[92:93], v[132:135]// 00000000FA7C: D3D70084 0E12B90C
	v_mfma_i32_16x16x32_i8 v[132:135], a[14:15], v[94:95], v[132:135]// 00000000FA84: D3D70084 0E12BD0E
	v_mfma_i32_16x16x32_i8 v[136:139], a[16:17], v[88:89], 0   // 00000000FA8C: D3D70088 0A02B110
	v_mfma_i32_16x16x32_i8 v[136:139], a[18:19], v[90:91], v[136:139]// 00000000FA94: D3D70088 0E22B512
	v_mfma_i32_16x16x32_i8 v[136:139], a[20:21], v[92:93], v[136:139]// 00000000FA9C: D3D70088 0E22B914
	v_mfma_i32_16x16x32_i8 v[136:139], a[22:23], v[94:95], v[136:139]// 00000000FAA4: D3D70088 0E22BD16
	v_mfma_i32_16x16x32_i8 v[140:143], a[24:25], v[88:89], 0   // 00000000FAAC: D3D7008C 0A02B118
	v_mfma_i32_16x16x32_i8 v[140:143], a[26:27], v[90:91], v[140:143]// 00000000FAB4: D3D7008C 0E32B51A
	v_mfma_i32_16x16x32_i8 v[140:143], a[28:29], v[92:93], v[140:143]// 00000000FABC: D3D7008C 0E32B91C
	v_mfma_i32_16x16x32_i8 v[140:143], a[30:31], v[94:95], v[140:143]// 00000000FAC4: D3D7008C 0E32BD1E
	v_mfma_i32_16x16x32_i8 v[144:147], a[0:1], v[96:97], 0     // 00000000FACC: D3D70090 0A02C100
	v_mfma_i32_16x16x32_i8 v[144:147], a[2:3], v[98:99], v[144:147]// 00000000FAD4: D3D70090 0E42C502
	v_mfma_i32_16x16x32_i8 v[144:147], a[4:5], v[100:101], v[144:147]// 00000000FADC: D3D70090 0E42C904
	v_mfma_i32_16x16x32_i8 v[144:147], a[6:7], v[102:103], v[144:147]// 00000000FAE4: D3D70090 0E42CD06
	v_mfma_i32_16x16x32_i8 v[148:151], a[8:9], v[96:97], 0     // 00000000FAEC: D3D70094 0A02C108
	v_mfma_i32_16x16x32_i8 v[148:151], a[10:11], v[98:99], v[148:151]// 00000000FAF4: D3D70094 0E52C50A
	v_mfma_i32_16x16x32_i8 v[148:151], a[12:13], v[100:101], v[148:151]// 00000000FAFC: D3D70094 0E52C90C
	v_mfma_i32_16x16x32_i8 v[148:151], a[14:15], v[102:103], v[148:151]// 00000000FB04: D3D70094 0E52CD0E
	v_mfma_i32_16x16x32_i8 v[152:155], a[16:17], v[96:97], 0   // 00000000FB0C: D3D70098 0A02C110
	v_mfma_i32_16x16x32_i8 v[152:155], a[18:19], v[98:99], v[152:155]// 00000000FB14: D3D70098 0E62C512
	v_mfma_i32_16x16x32_i8 v[152:155], a[20:21], v[100:101], v[152:155]// 00000000FB1C: D3D70098 0E62C914
	v_mfma_i32_16x16x32_i8 v[152:155], a[22:23], v[102:103], v[152:155]// 00000000FB24: D3D70098 0E62CD16
	v_mfma_i32_16x16x32_i8 v[156:159], a[24:25], v[96:97], 0   // 00000000FB2C: D3D7009C 0A02C118
	v_mfma_i32_16x16x32_i8 v[156:159], a[26:27], v[98:99], v[156:159]// 00000000FB34: D3D7009C 0E72C51A
	v_mfma_i32_16x16x32_i8 v[156:159], a[28:29], v[100:101], v[156:159]// 00000000FB3C: D3D7009C 0E72C91C
	v_mfma_i32_16x16x32_i8 v[156:159], a[30:31], v[102:103], v[156:159]// 00000000FB44: D3D7009C 0E72CD1E
	buffer_load_dword v43, v3, s[32:35], 0 offen               // 00000000FB4C: E0501000 80082B03
	v_mov_b32_dpp v64, v42 row_shr:4 row_mask:0xf bank_mask:0xf// 00000000FB54: 7E8002FA FF01142A
	v_mov_b32_dpp v65, v42 row_shl:4 row_mask:0xf bank_mask:0xf// 00000000FB5C: 7E8202FA FF01042A
	v_cndmask_b32_e64 v248, v42, v64, s[44:45]                 // 00000000FB64: D10000F8 00B2812A
	v_cndmask_b32_e64 v249, v65, v42, s[44:45]                 // 00000000FB6C: D10000F9 00B25541
	v_mov_b32_dpp v64, v248 row_shr:8 row_mask:0xf bank_mask:0xf// 00000000FB74: 7E8002FA FF0118F8
	v_mov_b32_dpp v65, v248 row_shl:8 row_mask:0xf bank_mask:0xf// 00000000FB7C: 7E8202FA FF0108F8
	v_mov_b32_dpp v66, v249 row_shr:8 row_mask:0xf bank_mask:0xf// 00000000FB84: 7E8402FA FF0118F9
	v_mov_b32_dpp v67, v249 row_shl:8 row_mask:0xf bank_mask:0xf// 00000000FB8C: 7E8602FA FF0108F9
	v_mov_b32_e32 v68, v248                                    // 00000000FB94: 7E8803F8
	v_mov_b32_e32 v69, v249                                    // 00000000FB98: 7E8A03F9
	v_cndmask_b32_e64 v248, v68, v64, s[42:43]                 // 00000000FB9C: D10000F8 00AA8144
	v_cndmask_b32_e64 v250, v68, v65, s[78:79]                 // 00000000FBA4: D10000FA 013A8344
	v_cndmask_b32_e64 v249, v69, v66, s[42:43]                 // 00000000FBAC: D10000F9 00AA8545
	v_cndmask_b32_e64 v251, v69, v67, s[78:79]                 // 00000000FBB4: D10000FB 013A8745
	v_mov_b32_dpp v64, v57 row_shr:4 row_mask:0xf bank_mask:0xf// 00000000FBBC: 7E8002FA FF011439
	v_mov_b32_dpp v65, v57 row_shl:4 row_mask:0xf bank_mask:0xf// 00000000FBC4: 7E8202FA FF010439
	v_cndmask_b32_e64 v252, v57, v64, s[44:45]                 // 00000000FBCC: D10000FC 00B28139
	v_cndmask_b32_e64 v253, v65, v57, s[44:45]                 // 00000000FBD4: D10000FD 00B27341
	v_mov_b32_dpp v64, v252 row_shr:8 row_mask:0xf bank_mask:0xf// 00000000FBDC: 7E8002FA FF0118FC
	v_mov_b32_dpp v65, v252 row_shl:8 row_mask:0xf bank_mask:0xf// 00000000FBE4: 7E8202FA FF0108FC
	v_mov_b32_dpp v66, v253 row_shr:8 row_mask:0xf bank_mask:0xf// 00000000FBEC: 7E8402FA FF0118FD
	v_mov_b32_dpp v67, v253 row_shl:8 row_mask:0xf bank_mask:0xf// 00000000FBF4: 7E8602FA FF0108FD
	v_mov_b32_e32 v68, v252                                    // 00000000FBFC: 7E8803FC
	v_mov_b32_e32 v69, v253                                    // 00000000FC00: 7E8A03FD
	v_cndmask_b32_e64 v252, v68, v64, s[42:43]                 // 00000000FC04: D10000FC 00AA8144
	v_cndmask_b32_e64 v254, v68, v65, s[78:79]                 // 00000000FC0C: D10000FE 013A8344
	v_cndmask_b32_e64 v253, v69, v66, s[42:43]                 // 00000000FC14: D10000FD 00AA8545
	v_cndmask_b32_e64 v255, v69, v67, s[78:79]                 // 00000000FC1C: D10000FF 013A8745
	buffer_load_dword v58, v56, s[36:39], 0 offen              // 00000000FC24: E0501000 80093A38
	v_cvt_f32_i32_e32 v112, v112                               // 00000000FC2C: 7EE00B70
	v_cvt_f32_i32_e32 v113, v113                               // 00000000FC30: 7EE20B71
	v_cvt_f32_i32_e32 v114, v114                               // 00000000FC34: 7EE40B72
	v_cvt_f32_i32_e32 v115, v115                               // 00000000FC38: 7EE60B73
	v_cvt_f32_i32_e32 v116, v116                               // 00000000FC3C: 7EE80B74
	v_cvt_f32_i32_e32 v117, v117                               // 00000000FC40: 7EEA0B75
	v_cvt_f32_i32_e32 v118, v118                               // 00000000FC44: 7EEC0B76
	v_cvt_f32_i32_e32 v119, v119                               // 00000000FC48: 7EEE0B77
	v_cvt_f32_i32_e32 v120, v120                               // 00000000FC4C: 7EF00B78
	v_cvt_f32_i32_e32 v121, v121                               // 00000000FC50: 7EF20B79
	v_cvt_f32_i32_e32 v122, v122                               // 00000000FC54: 7EF40B7A
	v_cvt_f32_i32_e32 v123, v123                               // 00000000FC58: 7EF60B7B
	v_cvt_f32_i32_e32 v124, v124                               // 00000000FC5C: 7EF80B7C
	v_cvt_f32_i32_e32 v125, v125                               // 00000000FC60: 7EFA0B7D
	v_cvt_f32_i32_e32 v126, v126                               // 00000000FC64: 7EFC0B7E
	v_cvt_f32_i32_e32 v127, v127                               // 00000000FC68: 7EFE0B7F
	v_mul_f32_e32 v112, v18, v112                              // 00000000FC6C: 0AE0E112
	v_mul_f32_e32 v113, v18, v113                              // 00000000FC70: 0AE2E312
	v_mul_f32_e32 v114, v18, v114                              // 00000000FC74: 0AE4E512
	v_mul_f32_e32 v115, v18, v115                              // 00000000FC78: 0AE6E712
	v_mul_f32_e32 v116, v18, v116                              // 00000000FC7C: 0AE8E912
	v_mul_f32_e32 v117, v18, v117                              // 00000000FC80: 0AEAEB12
	v_mul_f32_e32 v118, v18, v118                              // 00000000FC84: 0AECED12
	v_mul_f32_e32 v119, v18, v119                              // 00000000FC88: 0AEEEF12
	v_mul_f32_e32 v120, v18, v120                              // 00000000FC8C: 0AF0F112
	v_mul_f32_e32 v121, v18, v121                              // 00000000FC90: 0AF2F312
	v_mul_f32_e32 v122, v18, v122                              // 00000000FC94: 0AF4F512
	v_mul_f32_e32 v123, v18, v123                              // 00000000FC98: 0AF6F712
	v_mul_f32_e32 v124, v18, v124                              // 00000000FC9C: 0AF8F912
	v_mul_f32_e32 v125, v18, v125                              // 00000000FCA0: 0AFAFB12
	v_mul_f32_e32 v126, v18, v126                              // 00000000FCA4: 0AFCFD12
	v_mul_f32_e32 v127, v18, v127                              // 00000000FCA8: 0AFEFF12
	buffer_load_dwordx4 a[48:51], v28, s[16:19], 0 offen       // 00000000FCAC: E05C1000 8084301C
	v_mul_f32_dpp v112, v248, v112 quad_perm:[0,0,0,0] row_mask:0xf bank_mask:0xf// 00000000FCB4: 0AE0E0FA FF0000F8
	v_mul_f32_dpp v113, v248, v113 quad_perm:[1,1,1,1] row_mask:0xf bank_mask:0xf// 00000000FCBC: 0AE2E2FA FF0055F8
	v_mul_f32_dpp v114, v248, v114 quad_perm:[2,2,2,2] row_mask:0xf bank_mask:0xf// 00000000FCC4: 0AE4E4FA FF00AAF8
	v_mul_f32_dpp v115, v248, v115 quad_perm:[3,3,3,3] row_mask:0xf bank_mask:0xf// 00000000FCCC: 0AE6E6FA FF00FFF8
	v_mul_f32_dpp v116, v249, v116 quad_perm:[0,0,0,0] row_mask:0xf bank_mask:0xf// 00000000FCD4: 0AE8E8FA FF0000F9
	v_mul_f32_dpp v117, v249, v117 quad_perm:[1,1,1,1] row_mask:0xf bank_mask:0xf// 00000000FCDC: 0AEAEAFA FF0055F9
	v_mul_f32_dpp v118, v249, v118 quad_perm:[2,2,2,2] row_mask:0xf bank_mask:0xf// 00000000FCE4: 0AECECFA FF00AAF9
	v_mul_f32_dpp v119, v249, v119 quad_perm:[3,3,3,3] row_mask:0xf bank_mask:0xf// 00000000FCEC: 0AEEEEFA FF00FFF9
	v_mul_f32_dpp v120, v250, v120 quad_perm:[0,0,0,0] row_mask:0xf bank_mask:0xf// 00000000FCF4: 0AF0F0FA FF0000FA
	v_mul_f32_dpp v121, v250, v121 quad_perm:[1,1,1,1] row_mask:0xf bank_mask:0xf// 00000000FCFC: 0AF2F2FA FF0055FA
	v_mul_f32_dpp v122, v250, v122 quad_perm:[2,2,2,2] row_mask:0xf bank_mask:0xf// 00000000FD04: 0AF4F4FA FF00AAFA
	v_mul_f32_dpp v123, v250, v123 quad_perm:[3,3,3,3] row_mask:0xf bank_mask:0xf// 00000000FD0C: 0AF6F6FA FF00FFFA
	v_mul_f32_dpp v124, v251, v124 quad_perm:[0,0,0,0] row_mask:0xf bank_mask:0xf// 00000000FD14: 0AF8F8FA FF0000FB
	v_mul_f32_dpp v125, v251, v125 quad_perm:[1,1,1,1] row_mask:0xf bank_mask:0xf// 00000000FD1C: 0AFAFAFA FF0055FB
	v_mul_f32_dpp v126, v251, v126 quad_perm:[2,2,2,2] row_mask:0xf bank_mask:0xf// 00000000FD24: 0AFCFCFA FF00AAFB
	v_mul_f32_dpp v127, v251, v127 quad_perm:[3,3,3,3] row_mask:0xf bank_mask:0xf// 00000000FD2C: 0AFEFEFA FF00FFFB
	buffer_load_dwordx4 a[52:55], v28, s[16:19], 0 offen offset:1024// 00000000FD34: E05C1400 8084341C
	v_mov_b32_e32 v48, v112                                    // 00000000FD3C: 7E600370
	v_max3_f32 v48, v112, v113, v48                            // 00000000FD40: D1D30030 04C2E370
	v_max3_f32 v48, v114, v115, v48                            // 00000000FD48: D1D30030 04C2E772
	v_max3_f32 v48, v116, v117, v48                            // 00000000FD50: D1D30030 04C2EB74
	v_max3_f32 v48, v118, v119, v48                            // 00000000FD58: D1D30030 04C2EF76
	v_max3_f32 v48, v120, v121, v48                            // 00000000FD60: D1D30030 04C2F378
	v_max3_f32 v48, v122, v123, v48                            // 00000000FD68: D1D30030 04C2F77A
	v_max3_f32 v48, v124, v125, v48                            // 00000000FD70: D1D30030 04C2FB7C
	v_max3_f32 v48, v126, v127, v48                            // 00000000FD78: D1D30030 04C2FF7E
	ds_write_b32 v8, v48 offset:16896                          // 00000000FD80: D81A4200 00003008
	buffer_load_dwordx4 a[56:59], v29, s[16:19], 0 offen       // 00000000FD88: E05C1000 8084381D
	v_mul_u32_u24_dpp v64, v17, v54 row_newbcast:1 row_mask:0xf bank_mask:0xf// 00000000FD90: 10806CFA FF015111
	v_mul_u32_u24_dpp v65, v17, v54 row_newbcast:5 row_mask:0xf bank_mask:0xf// 00000000FD98: 10826CFA FF015511
	v_mul_u32_u24_dpp v66, v17, v54 row_newbcast:9 row_mask:0xf bank_mask:0xf// 00000000FDA0: 10846CFA FF015911
	v_mul_u32_u24_dpp v67, v17, v54 row_newbcast:13 row_mask:0xf bank_mask:0xf// 00000000FDA8: 10866CFA FF015D11
	v_add_u32_e32 v34, v64, v6                                 // 00000000FDB0: 68440D40
	v_add_u32_e32 v35, v65, v6                                 // 00000000FDB4: 68460D41
	v_add_u32_e32 v36, v66, v6                                 // 00000000FDB8: 68480D42
	v_add_u32_e32 v37, v67, v6                                 // 00000000FDBC: 684A0D43
	v_mul_f32_e32 v208, v49, v208                              // 00000000FDC0: 0BA1A131
	v_mul_f32_e32 v209, v49, v209                              // 00000000FDC4: 0BA3A331
	v_mul_f32_e32 v210, v49, v210                              // 00000000FDC8: 0BA5A531
	v_mul_f32_e32 v211, v49, v211                              // 00000000FDCC: 0BA7A731
	v_mul_f32_e32 v212, v49, v212                              // 00000000FDD0: 0BA9A931
	v_mul_f32_e32 v213, v49, v213                              // 00000000FDD4: 0BABAB31
	v_mul_f32_e32 v214, v49, v214                              // 00000000FDD8: 0BADAD31
	v_mul_f32_e32 v215, v49, v215                              // 00000000FDDC: 0BAFAF31
	s_waitcnt lgkmcnt(0)                                       // 00000000FDE0: BF8CC07F
	s_barrier                                                  // 00000000FDE4: BF8A0000
	ds_read_b32 v64, v7 offset:16896                           // 00000000FDE8: D86C4200 40000007
	ds_read_b32 v65, v7 offset:16960                           // 00000000FDF0: D86C4240 41000007
	ds_read_b32 v66, v7 offset:17024                           // 00000000FDF8: D86C4280 42000007
	ds_read_b32 v67, v7 offset:17088                           // 00000000FE00: D86C42C0 43000007
	ds_read_b32 v68, v7 offset:17152                           // 00000000FE08: D86C4300 44000007
	ds_read_b32 v69, v7 offset:17216                           // 00000000FE10: D86C4340 45000007
	ds_read_b32 v70, v7 offset:17280                           // 00000000FE18: D86C4380 46000007
	ds_read_b32 v71, v7 offset:17344                           // 00000000FE20: D86C43C0 47000007
	ds_read_b32 v72, v7 offset:17408                           // 00000000FE28: D86C4400 48000007
	ds_read_b32 v73, v7 offset:17472                           // 00000000FE30: D86C4440 49000007
	ds_read_b32 v74, v7 offset:17536                           // 00000000FE38: D86C4480 4A000007
	ds_read_b32 v75, v7 offset:17600                           // 00000000FE40: D86C44C0 4B000007
	ds_read_b32 v76, v7 offset:17664                           // 00000000FE48: D86C4500 4C000007
	ds_read_b32 v77, v7 offset:17728                           // 00000000FE50: D86C4540 4D000007
	ds_read_b32 v78, v7 offset:17792                           // 00000000FE58: D86C4580 4E000007
	ds_read_b32 v79, v7 offset:17856                           // 00000000FE60: D86C45C0 4F000007
	buffer_load_dwordx4 a[60:63], v29, s[16:19], 0 offen offset:1024// 00000000FE68: E05C1400 80843C1D
	v_cvt_f32_i32_e32 v176, v176                               // 00000000FE70: 7F600BB0
	v_cvt_f32_i32_e32 v177, v177                               // 00000000FE74: 7F620BB1
	v_cvt_f32_i32_e32 v178, v178                               // 00000000FE78: 7F640BB2
	v_cvt_f32_i32_e32 v179, v179                               // 00000000FE7C: 7F660BB3
	v_cvt_f32_i32_e32 v180, v180                               // 00000000FE80: 7F680BB4
	v_cvt_f32_i32_e32 v181, v181                               // 00000000FE84: 7F6A0BB5
	v_cvt_f32_i32_e32 v182, v182                               // 00000000FE88: 7F6C0BB6
	v_cvt_f32_i32_e32 v183, v183                               // 00000000FE8C: 7F6E0BB7
	v_mul_f32_e32 v176, v44, v176                              // 00000000FE90: 0B61612C
	v_mul_f32_e32 v177, v44, v177                              // 00000000FE94: 0B63632C
	v_mul_f32_e32 v178, v44, v178                              // 00000000FE98: 0B65652C
	v_mul_f32_e32 v179, v44, v179                              // 00000000FE9C: 0B67672C
	v_mul_f32_e32 v180, v44, v180                              // 00000000FEA0: 0B69692C
	v_mul_f32_e32 v181, v44, v181                              // 00000000FEA4: 0B6B6B2C
	v_mul_f32_e32 v182, v44, v182                              // 00000000FEA8: 0B6D6D2C
	v_mul_f32_e32 v183, v44, v183                              // 00000000FEAC: 0B6F6F2C
	s_waitcnt lgkmcnt(0)                                       // 00000000FEB0: BF8CC07F
	v_max3_f32 v48, v64, v65, v48                              // 00000000FEB4: D1D30030 04C28340
	v_max3_f32 v48, v66, v67, v48                              // 00000000FEBC: D1D30030 04C28742
	v_max3_f32 v48, v68, v69, v48                              // 00000000FEC4: D1D30030 04C28B44
	v_max3_f32 v48, v70, v71, v48                              // 00000000FECC: D1D30030 04C28F46
	v_max3_f32 v48, v72, v73, v48                              // 00000000FED4: D1D30030 04C29348
	v_max3_f32 v48, v74, v75, v48                              // 00000000FEDC: D1D30030 04C2974A
	v_max3_f32 v48, v76, v77, v48                              // 00000000FEE4: D1D30030 04C29B4C
	v_max3_f32 v48, v78, v79, v48                              // 00000000FEEC: D1D30030 04C29F4E
	buffer_load_dwordx4 a[96:99], v34, s[20:23], 0 offen       // 00000000FEF4: E05C1000 80856022
	v_mov_b32_e32 v64, 0xff800000                              // 00000000FEFC: 7E8002FF FF800000
	v_cmp_eq_u32_e64 s[40:41], v64, v11                        // 00000000FF04: D0CA0028 00021740
	s_nop 1                                                    // 00000000FF0C: BF800001
	v_max_f32_e32 v15, v48, v11                                // 00000000FF10: 161E1730
	v_mul_f32_e32 v53, s64, v15                                // 00000000FF14: 0A6A1E40
	v_fma_f32 v112, v112, s64, -v53                            // 00000000FF18: D1CB0070 84D48170
	v_fma_f32 v113, v113, s64, -v53                            // 00000000FF20: D1CB0071 84D48171
	v_fma_f32 v114, v114, s64, -v53                            // 00000000FF28: D1CB0072 84D48172
	v_fma_f32 v115, v115, s64, -v53                            // 00000000FF30: D1CB0073 84D48173
	v_fma_f32 v116, v116, s64, -v53                            // 00000000FF38: D1CB0074 84D48174
	v_fma_f32 v117, v117, s64, -v53                            // 00000000FF40: D1CB0075 84D48175
	v_fma_f32 v118, v118, s64, -v53                            // 00000000FF48: D1CB0076 84D48176
	v_fma_f32 v119, v119, s64, -v53                            // 00000000FF50: D1CB0077 84D48177
	v_fma_f32 v120, v120, s64, -v53                            // 00000000FF58: D1CB0078 84D48178
	v_fma_f32 v121, v121, s64, -v53                            // 00000000FF60: D1CB0079 84D48179
	v_fma_f32 v122, v122, s64, -v53                            // 00000000FF68: D1CB007A 84D4817A
	v_fma_f32 v123, v123, s64, -v53                            // 00000000FF70: D1CB007B 84D4817B
	v_fma_f32 v124, v124, s64, -v53                            // 00000000FF78: D1CB007C 84D4817C
	v_fma_f32 v125, v125, s64, -v53                            // 00000000FF80: D1CB007D 84D4817D
	v_fma_f32 v126, v126, s64, -v53                            // 00000000FF88: D1CB007E 84D4817E
	v_fma_f32 v127, v127, s64, -v53                            // 00000000FF90: D1CB007F 84D4817F
	buffer_load_dwordx4 a[100:103], v35, s[20:23], 0 offen     // 00000000FF98: E05C1000 80856423
	v_exp_f32_e32 v112, v112                                   // 00000000FFA0: 7EE04170
	v_exp_f32_e32 v113, v113                                   // 00000000FFA4: 7EE24171
	v_exp_f32_e32 v114, v114                                   // 00000000FFA8: 7EE44172
	v_exp_f32_e32 v115, v115                                   // 00000000FFAC: 7EE64173
	v_exp_f32_e32 v116, v116                                   // 00000000FFB0: 7EE84174
	v_exp_f32_e32 v117, v117                                   // 00000000FFB4: 7EEA4175
	v_exp_f32_e32 v118, v118                                   // 00000000FFB8: 7EEC4176
	v_exp_f32_e32 v119, v119                                   // 00000000FFBC: 7EEE4177
	v_exp_f32_e32 v120, v120                                   // 00000000FFC0: 7EF04178
	v_exp_f32_e32 v121, v121                                   // 00000000FFC4: 7EF24179
	v_exp_f32_e32 v122, v122                                   // 00000000FFC8: 7EF4417A
	v_exp_f32_e32 v123, v123                                   // 00000000FFCC: 7EF6417B
	v_exp_f32_e32 v124, v124                                   // 00000000FFD0: 7EF8417C
	v_exp_f32_e32 v125, v125                                   // 00000000FFD4: 7EFA417D
	v_exp_f32_e32 v126, v126                                   // 00000000FFD8: 7EFC417E
	v_exp_f32_e32 v127, v127                                   // 00000000FFDC: 7EFE417F
	buffer_load_dwordx4 a[104:107], v36, s[20:23], 0 offen     // 00000000FFE0: E05C1000 80856824
	v_mul_f32_dpp v240, v252, v112 quad_perm:[0,0,0,0] row_mask:0xf bank_mask:0xf// 00000000FFE8: 0BE0E0FA FF0000FC
	v_mul_f32_dpp v241, v252, v113 quad_perm:[1,1,1,1] row_mask:0xf bank_mask:0xf// 00000000FFF0: 0BE2E2FA FF0055FC
	v_mul_f32_dpp v242, v252, v114 quad_perm:[2,2,2,2] row_mask:0xf bank_mask:0xf// 00000000FFF8: 0BE4E4FA FF00AAFC
	v_mul_f32_dpp v243, v252, v115 quad_perm:[3,3,3,3] row_mask:0xf bank_mask:0xf// 000000010000: 0BE6E6FA FF00FFFC
	v_mul_f32_dpp v244, v253, v116 quad_perm:[0,0,0,0] row_mask:0xf bank_mask:0xf// 000000010008: 0BE8E8FA FF0000FD
	v_mul_f32_dpp v245, v253, v117 quad_perm:[1,1,1,1] row_mask:0xf bank_mask:0xf// 000000010010: 0BEAEAFA FF0055FD
	v_mul_f32_dpp v246, v253, v118 quad_perm:[2,2,2,2] row_mask:0xf bank_mask:0xf// 000000010018: 0BECECFA FF00AAFD
	v_mul_f32_dpp v247, v253, v119 quad_perm:[3,3,3,3] row_mask:0xf bank_mask:0xf// 000000010020: 0BEEEEFA FF00FFFD
	v_mul_f32_dpp v248, v254, v120 quad_perm:[0,0,0,0] row_mask:0xf bank_mask:0xf// 000000010028: 0BF0F0FA FF0000FE
	v_mul_f32_dpp v249, v254, v121 quad_perm:[1,1,1,1] row_mask:0xf bank_mask:0xf// 000000010030: 0BF2F2FA FF0055FE
	v_mul_f32_dpp v250, v254, v122 quad_perm:[2,2,2,2] row_mask:0xf bank_mask:0xf// 000000010038: 0BF4F4FA FF00AAFE
	v_mul_f32_dpp v251, v254, v123 quad_perm:[3,3,3,3] row_mask:0xf bank_mask:0xf// 000000010040: 0BF6F6FA FF00FFFE
	v_mul_f32_dpp v252, v255, v124 quad_perm:[0,0,0,0] row_mask:0xf bank_mask:0xf// 000000010048: 0BF8F8FA FF0000FF
	v_mul_f32_dpp v253, v255, v125 quad_perm:[1,1,1,1] row_mask:0xf bank_mask:0xf// 000000010050: 0BFAFAFA FF0055FF
	v_mul_f32_dpp v254, v255, v126 quad_perm:[2,2,2,2] row_mask:0xf bank_mask:0xf// 000000010058: 0BFCFCFA FF00AAFF
	v_mul_f32_dpp v255, v255, v127 quad_perm:[3,3,3,3] row_mask:0xf bank_mask:0xf// 000000010060: 0BFEFEFA FF00FFFF
	v_mov_b32_e32 v48, 0x358637bd                              // 000000010068: 7E6002FF 358637BD
	v_max3_f32 v48, |v240|, |v241|, v48                        // 000000010070: D1D30330 04C3E3F0
	v_max3_f32 v48, |v242|, |v243|, v48                        // 000000010078: D1D30330 04C3E7F2
	v_max3_f32 v48, |v244|, |v245|, v48                        // 000000010080: D1D30330 04C3EBF4
	v_max3_f32 v48, |v246|, |v247|, v48                        // 000000010088: D1D30330 04C3EFF6
	v_max3_f32 v48, |v248|, |v249|, v48                        // 000000010090: D1D30330 04C3F3F8
	v_max3_f32 v48, |v250|, |v251|, v48                        // 000000010098: D1D30330 04C3F7FA
	v_max3_f32 v48, |v252|, |v253|, v48                        // 0000000100A0: D1D30330 04C3FBFC
	v_max3_f32 v48, |v254|, |v255|, v48                        // 0000000100A8: D1D30330 04C3FFFE
	buffer_load_dwordx4 a[108:111], v37, s[20:23], 0 offen     // 0000000100B0: E05C1000 80856C25
	ds_write_b32 v8, v48 offset:20992                          // 0000000100B8: D81A5200 00003008
	v_sub_f32_e32 v49, v11, v15                                // 0000000100C0: 04621F0B
	v_cndmask_b32_e64 v49, v49, 0, s[40:41]                    // 0000000100C4: D1000031 00A10131
	v_mov_b32_e32 v11, v15                                     // 0000000100CC: 7E16030F
	v_mul_f32_e32 v49, s64, v49                                // 0000000100D0: 0A626240
	v_exp_f32_e32 v49, v49                                     // 0000000100D4: 7E624131
	s_waitcnt lgkmcnt(0)                                       // 0000000100D8: BF8CC07F
	s_barrier                                                  // 0000000100DC: BF8A0000
	ds_read_b32 v64, v7 offset:20992                           // 0000000100E0: D86C5200 40000007
	ds_read_b32 v65, v7 offset:21056                           // 0000000100E8: D86C5240 41000007
	ds_read_b32 v66, v7 offset:21120                           // 0000000100F0: D86C5280 42000007
	ds_read_b32 v67, v7 offset:21184                           // 0000000100F8: D86C52C0 43000007
	ds_read_b32 v68, v7 offset:21248                           // 000000010100: D86C5300 44000007
	ds_read_b32 v69, v7 offset:21312                           // 000000010108: D86C5340 45000007
	ds_read_b32 v70, v7 offset:21376                           // 000000010110: D86C5380 46000007
	ds_read_b32 v71, v7 offset:21440                           // 000000010118: D86C53C0 47000007
	ds_read_b32 v72, v7 offset:21504                           // 000000010120: D86C5400 48000007
	ds_read_b32 v73, v7 offset:21568                           // 000000010128: D86C5440 49000007
	ds_read_b32 v74, v7 offset:21632                           // 000000010130: D86C5480 4A000007
	ds_read_b32 v75, v7 offset:21696                           // 000000010138: D86C54C0 4B000007
	ds_read_b32 v76, v7 offset:21760                           // 000000010140: D86C5500 4C000007
	ds_read_b32 v77, v7 offset:21824                           // 000000010148: D86C5540 4D000007
	ds_read_b32 v78, v7 offset:21888                           // 000000010150: D86C5580 4E000007
	ds_read_b32 v79, v7 offset:21952                           // 000000010158: D86C55C0 4F000007
	v_mul_f32_e32 v38, v49, v38                                // 000000010160: 0A4C4D31
	v_mov_b32_e32 v15, v112                                    // 000000010164: 7E1E0370
	v_add_f32_e32 v15, v113, v15                               // 000000010168: 021E1F71
	v_add_f32_e32 v15, v114, v15                               // 00000001016C: 021E1F72
	v_add_f32_e32 v15, v115, v15                               // 000000010170: 021E1F73
	v_add_f32_e32 v15, v116, v15                               // 000000010174: 021E1F74
	v_add_f32_e32 v15, v117, v15                               // 000000010178: 021E1F75
	v_add_f32_e32 v15, v118, v15                               // 00000001017C: 021E1F76
	v_add_f32_e32 v15, v119, v15                               // 000000010180: 021E1F77
	v_add_f32_e32 v15, v120, v15                               // 000000010184: 021E1F78
	v_add_f32_e32 v15, v121, v15                               // 000000010188: 021E1F79
	v_add_f32_e32 v15, v122, v15                               // 00000001018C: 021E1F7A
	v_add_f32_e32 v15, v123, v15                               // 000000010190: 021E1F7B
	v_add_f32_e32 v15, v124, v15                               // 000000010194: 021E1F7C
	v_add_f32_e32 v15, v125, v15                               // 000000010198: 021E1F7D
	v_add_f32_e32 v15, v126, v15                               // 00000001019C: 021E1F7E
	v_add_f32_e32 v15, v127, v15                               // 0000000101A0: 021E1F7F
	v_add_f32_e32 v38, v15, v38                                // 0000000101A4: 024C4D0F
	s_waitcnt lgkmcnt(0)                                       // 0000000101A8: BF8CC07F
	v_max3_f32 v48, |v64|, |v65|, v48                          // 0000000101AC: D1D30330 04C28340
	v_max3_f32 v48, |v66|, |v67|, v48                          // 0000000101B4: D1D30330 04C28742
	v_max3_f32 v48, |v68|, |v69|, v48                          // 0000000101BC: D1D30330 04C28B44
	v_max3_f32 v48, |v70|, |v71|, v48                          // 0000000101C4: D1D30330 04C28F46
	v_max3_f32 v48, |v72|, |v73|, v48                          // 0000000101CC: D1D30330 04C29348
	v_max3_f32 v48, |v74|, |v75|, v48                          // 0000000101D4: D1D30330 04C2974A
	v_max3_f32 v48, |v76|, |v77|, v48                          // 0000000101DC: D1D30330 04C29B4C
	v_max3_f32 v48, |v78|, |v79|, v48                          // 0000000101E4: D1D30330 04C29F4E
	s_nop 2                                                    // 0000000101EC: BF800002
	v_rcp_f32_e32 v48, v48                                     // 0000000101F0: 7E604530
	s_nop 1                                                    // 0000000101F4: BF800001
	v_mul_f32_e32 v48, 0x42fe0000, v48                         // 0000000101F8: 0A6060FF 42FE0000
	v_mul_f32_e32 v112, v48, v240                              // 000000010200: 0AE1E130
	v_mul_f32_e32 v113, v48, v241                              // 000000010204: 0AE3E330
	v_mul_f32_e32 v114, v48, v242                              // 000000010208: 0AE5E530
	v_mul_f32_e32 v115, v48, v243                              // 00000001020C: 0AE7E730
	v_mul_f32_e32 v116, v48, v244                              // 000000010210: 0AE9E930
	v_mul_f32_e32 v117, v48, v245                              // 000000010214: 0AEBEB30
	v_mul_f32_e32 v118, v48, v246                              // 000000010218: 0AEDED30
	v_mul_f32_e32 v119, v48, v247                              // 00000001021C: 0AEFEF30
	v_mul_f32_e32 v120, v48, v248                              // 000000010220: 0AF1F130
	v_mul_f32_e32 v121, v48, v249                              // 000000010224: 0AF3F330
	v_mul_f32_e32 v122, v48, v250                              // 000000010228: 0AF5F530
	v_mul_f32_e32 v123, v48, v251                              // 00000001022C: 0AF7F730
	v_mul_f32_e32 v124, v48, v252                              // 000000010230: 0AF9F930
	v_mul_f32_e32 v125, v48, v253                              // 000000010234: 0AFBFB30
	v_mul_f32_e32 v126, v48, v254                              // 000000010238: 0AFDFD30
	v_mul_f32_e32 v127, v48, v255                              // 00000001023C: 0AFFFF30
	v_cvt_i32_f32_e32 v112, v112                               // 000000010240: 7EE01170
	v_cvt_i32_f32_e32 v113, v113                               // 000000010244: 7EE21171
	v_cvt_i32_f32_e32 v114, v114                               // 000000010248: 7EE41172
	v_cvt_i32_f32_e32 v115, v115                               // 00000001024C: 7EE61173
	v_cvt_i32_f32_e32 v116, v116                               // 000000010250: 7EE81174
	v_cvt_i32_f32_e32 v117, v117                               // 000000010254: 7EEA1175
	v_cvt_i32_f32_e32 v118, v118                               // 000000010258: 7EEC1176
	v_cvt_i32_f32_e32 v119, v119                               // 00000001025C: 7EEE1177
	v_cvt_i32_f32_e32 v120, v120                               // 000000010260: 7EF01178
	v_cvt_i32_f32_e32 v121, v121                               // 000000010264: 7EF21179
	v_cvt_i32_f32_e32 v122, v122                               // 000000010268: 7EF4117A
	v_cvt_i32_f32_e32 v123, v123                               // 00000001026C: 7EF6117B
	v_cvt_i32_f32_e32 v124, v124                               // 000000010270: 7EF8117C
	v_cvt_i32_f32_e32 v125, v125                               // 000000010274: 7EFA117D
	v_cvt_i32_f32_e32 v126, v126                               // 000000010278: 7EFC117E
	v_cvt_i32_f32_e32 v127, v127                               // 00000001027C: 7EFE117F
	v_perm_b32 v112, v113, v112, s53                           // 000000010280: D1ED0070 00D6E171
	v_perm_b32 v112, v114, v112, s54                           // 000000010288: D1ED0070 00DAE172
	v_perm_b32 v112, v115, v112, s55                           // 000000010290: D1ED0070 00DEE173
	v_perm_b32 v113, v117, v116, s53                           // 000000010298: D1ED0071 00D6E975
	v_perm_b32 v113, v118, v113, s54                           // 0000000102A0: D1ED0071 00DAE376
	v_perm_b32 v113, v119, v113, s55                           // 0000000102A8: D1ED0071 00DEE377
	v_perm_b32 v114, v121, v120, s53                           // 0000000102B0: D1ED0072 00D6F179
	v_perm_b32 v114, v122, v114, s54                           // 0000000102B8: D1ED0072 00DAE57A
	v_perm_b32 v114, v123, v114, s55                           // 0000000102C0: D1ED0072 00DEE57B
	v_perm_b32 v115, v125, v124, s53                           // 0000000102C8: D1ED0073 00D6F97D
	v_perm_b32 v115, v126, v115, s54                           // 0000000102D0: D1ED0073 00DAE77E
	v_perm_b32 v115, v127, v115, s55                           // 0000000102D8: D1ED0073 00DEE77F
	ds_write_b32 v10, v112 offset:25088                        // 0000000102E0: D81A6200 0000700A
	ds_write_b32 v10, v113 offset:26112                        // 0000000102E8: D81A6600 0000710A
	ds_write_b32 v10, v114 offset:27136                        // 0000000102F0: D81A6A00 0000720A
	ds_write_b32 v10, v115 offset:28160                        // 0000000102F8: D81A6E00 0000730A
	v_add_f32_e32 v208, v208, v176                             // 000000010300: 03A161D0
	v_add_f32_e32 v209, v209, v177                             // 000000010304: 03A363D1
	v_add_f32_e32 v210, v210, v178                             // 000000010308: 03A565D2
	v_add_f32_e32 v211, v211, v179                             // 00000001030C: 03A767D3
	v_add_f32_e32 v212, v212, v180                             // 000000010310: 03A969D4
	v_add_f32_e32 v213, v213, v181                             // 000000010314: 03AB6BD5
	v_add_f32_e32 v214, v214, v182                             // 000000010318: 03AD6DD6
	v_add_f32_e32 v215, v215, v183                             // 00000001031C: 03AF6FD7
	v_rcp_f32_e32 v44, v48                                     // 000000010320: 7E584530
	s_waitcnt lgkmcnt(0)                                       // 000000010324: BF8CC07F
	s_barrier                                                  // 000000010328: BF8A0000
	ds_read_b64 v[112:113], v9 offset:25088                    // 00000001032C: D8EC6200 70000009
	ds_read_b64 v[114:115], v9 offset:25216                    // 000000010334: D8EC6280 72000009
	ds_read_b64 v[116:117], v9 offset:26112                    // 00000001033C: D8EC6600 74000009
	ds_read_b64 v[118:119], v9 offset:26240                    // 000000010344: D8EC6680 76000009
	ds_read_b64 v[120:121], v9 offset:27136                    // 00000001034C: D8EC6A00 78000009
	ds_read_b64 v[122:123], v9 offset:27264                    // 000000010354: D8EC6A80 7A000009
	ds_read_b64 v[124:125], v9 offset:28160                    // 00000001035C: D8EC6E00 7C000009
	ds_read_b64 v[126:127], v9 offset:28288                    // 000000010364: D8EC6E80 7E000009
	v_mov_b32_dpp v64, v42 row_shr:4 row_mask:0xf bank_mask:0xf// 00000001036C: 7E8002FA FF01142A
	v_mov_b32_dpp v65, v42 row_shl:4 row_mask:0xf bank_mask:0xf// 000000010374: 7E8202FA FF01042A
	v_cndmask_b32_e64 v248, v42, v64, s[44:45]                 // 00000001037C: D10000F8 00B2812A
	v_cndmask_b32_e64 v249, v65, v42, s[44:45]                 // 000000010384: D10000F9 00B25541
	v_mov_b32_dpp v64, v248 row_shr:8 row_mask:0xf bank_mask:0xf// 00000001038C: 7E8002FA FF0118F8
	v_mov_b32_dpp v65, v248 row_shl:8 row_mask:0xf bank_mask:0xf// 000000010394: 7E8202FA FF0108F8
	v_mov_b32_dpp v66, v249 row_shr:8 row_mask:0xf bank_mask:0xf// 00000001039C: 7E8402FA FF0118F9
	v_mov_b32_dpp v67, v249 row_shl:8 row_mask:0xf bank_mask:0xf// 0000000103A4: 7E8602FA FF0108F9
	v_mov_b32_e32 v68, v248                                    // 0000000103AC: 7E8803F8
	v_mov_b32_e32 v69, v249                                    // 0000000103B0: 7E8A03F9
	v_cndmask_b32_e64 v248, v68, v64, s[42:43]                 // 0000000103B4: D10000F8 00AA8144
	v_cndmask_b32_e64 v250, v68, v65, s[78:79]                 // 0000000103BC: D10000FA 013A8344
	v_cndmask_b32_e64 v249, v69, v66, s[42:43]                 // 0000000103C4: D10000F9 00AA8545
	v_cndmask_b32_e64 v251, v69, v67, s[78:79]                 // 0000000103CC: D10000FB 013A8745
	v_mov_b32_dpp v64, v57 row_shr:4 row_mask:0xf bank_mask:0xf// 0000000103D4: 7E8002FA FF011439
	v_mov_b32_dpp v65, v57 row_shl:4 row_mask:0xf bank_mask:0xf// 0000000103DC: 7E8202FA FF010439
	v_cndmask_b32_e64 v252, v57, v64, s[44:45]                 // 0000000103E4: D10000FC 00B28139
	v_cndmask_b32_e64 v253, v65, v57, s[44:45]                 // 0000000103EC: D10000FD 00B27341
	v_mov_b32_dpp v64, v252 row_shr:8 row_mask:0xf bank_mask:0xf// 0000000103F4: 7E8002FA FF0118FC
	v_mov_b32_dpp v65, v252 row_shl:8 row_mask:0xf bank_mask:0xf// 0000000103FC: 7E8202FA FF0108FC
	v_mov_b32_dpp v66, v253 row_shr:8 row_mask:0xf bank_mask:0xf// 000000010404: 7E8402FA FF0118FD
	v_mov_b32_dpp v67, v253 row_shl:8 row_mask:0xf bank_mask:0xf// 00000001040C: 7E8602FA FF0108FD
	v_mov_b32_e32 v68, v252                                    // 000000010414: 7E8803FC
	v_mov_b32_e32 v69, v253                                    // 000000010418: 7E8A03FD
	v_cndmask_b32_e64 v252, v68, v64, s[42:43]                 // 00000001041C: D10000FC 00AA8144
	v_cndmask_b32_e64 v254, v68, v65, s[78:79]                 // 000000010424: D10000FE 013A8344
	v_cndmask_b32_e64 v253, v69, v66, s[42:43]                 // 00000001042C: D10000FD 00AA8545
	v_cndmask_b32_e64 v255, v69, v67, s[78:79]                 // 000000010434: D10000FF 013A8745
	v_cvt_f32_i32_e32 v128, v128                               // 00000001043C: 7F000B80
	v_cvt_f32_i32_e32 v129, v129                               // 000000010440: 7F020B81
	v_cvt_f32_i32_e32 v130, v130                               // 000000010444: 7F040B82
	v_cvt_f32_i32_e32 v131, v131                               // 000000010448: 7F060B83
	v_cvt_f32_i32_e32 v132, v132                               // 00000001044C: 7F080B84
	v_cvt_f32_i32_e32 v133, v133                               // 000000010450: 7F0A0B85
	v_cvt_f32_i32_e32 v134, v134                               // 000000010454: 7F0C0B86
	v_cvt_f32_i32_e32 v135, v135                               // 000000010458: 7F0E0B87
	v_cvt_f32_i32_e32 v136, v136                               // 00000001045C: 7F100B88
	v_cvt_f32_i32_e32 v137, v137                               // 000000010460: 7F120B89
	v_cvt_f32_i32_e32 v138, v138                               // 000000010464: 7F140B8A
	v_cvt_f32_i32_e32 v139, v139                               // 000000010468: 7F160B8B
	v_cvt_f32_i32_e32 v140, v140                               // 00000001046C: 7F180B8C
	v_cvt_f32_i32_e32 v141, v141                               // 000000010470: 7F1A0B8D
	v_cvt_f32_i32_e32 v142, v142                               // 000000010474: 7F1C0B8E
	v_cvt_f32_i32_e32 v143, v143                               // 000000010478: 7F1E0B8F
	v_mul_f32_e32 v128, v19, v128                              // 00000001047C: 0B010113
	v_mul_f32_e32 v129, v19, v129                              // 000000010480: 0B030313
	v_mul_f32_e32 v130, v19, v130                              // 000000010484: 0B050513
	v_mul_f32_e32 v131, v19, v131                              // 000000010488: 0B070713
	v_mul_f32_e32 v132, v19, v132                              // 00000001048C: 0B090913
	v_mul_f32_e32 v133, v19, v133                              // 000000010490: 0B0B0B13
	v_mul_f32_e32 v134, v19, v134                              // 000000010494: 0B0D0D13
	v_mul_f32_e32 v135, v19, v135                              // 000000010498: 0B0F0F13
	v_mul_f32_e32 v136, v19, v136                              // 00000001049C: 0B111113
	v_mul_f32_e32 v137, v19, v137                              // 0000000104A0: 0B131313
	v_mul_f32_e32 v138, v19, v138                              // 0000000104A4: 0B151513
	v_mul_f32_e32 v139, v19, v139                              // 0000000104A8: 0B171713
	v_mul_f32_e32 v140, v19, v140                              // 0000000104AC: 0B191913
	v_mul_f32_e32 v141, v19, v141                              // 0000000104B0: 0B1B1B13
	v_mul_f32_e32 v142, v19, v142                              // 0000000104B4: 0B1D1D13
	v_mul_f32_e32 v143, v19, v143                              // 0000000104B8: 0B1F1F13
	v_mul_f32_dpp v128, v248, v128 quad_perm:[0,0,0,0] row_mask:0xf bank_mask:0xf// 0000000104BC: 0B0100FA FF0000F8
	v_mul_f32_dpp v129, v248, v129 quad_perm:[1,1,1,1] row_mask:0xf bank_mask:0xf// 0000000104C4: 0B0302FA FF0055F8
	v_mul_f32_dpp v130, v248, v130 quad_perm:[2,2,2,2] row_mask:0xf bank_mask:0xf// 0000000104CC: 0B0504FA FF00AAF8
	v_mul_f32_dpp v131, v248, v131 quad_perm:[3,3,3,3] row_mask:0xf bank_mask:0xf// 0000000104D4: 0B0706FA FF00FFF8
	v_mul_f32_dpp v132, v249, v132 quad_perm:[0,0,0,0] row_mask:0xf bank_mask:0xf// 0000000104DC: 0B0908FA FF0000F9
	v_mul_f32_dpp v133, v249, v133 quad_perm:[1,1,1,1] row_mask:0xf bank_mask:0xf// 0000000104E4: 0B0B0AFA FF0055F9
	v_mul_f32_dpp v134, v249, v134 quad_perm:[2,2,2,2] row_mask:0xf bank_mask:0xf// 0000000104EC: 0B0D0CFA FF00AAF9
	v_mul_f32_dpp v135, v249, v135 quad_perm:[3,3,3,3] row_mask:0xf bank_mask:0xf// 0000000104F4: 0B0F0EFA FF00FFF9
	v_mul_f32_dpp v136, v250, v136 quad_perm:[0,0,0,0] row_mask:0xf bank_mask:0xf// 0000000104FC: 0B1110FA FF0000FA
	v_mul_f32_dpp v137, v250, v137 quad_perm:[1,1,1,1] row_mask:0xf bank_mask:0xf// 000000010504: 0B1312FA FF0055FA
	v_mul_f32_dpp v138, v250, v138 quad_perm:[2,2,2,2] row_mask:0xf bank_mask:0xf// 00000001050C: 0B1514FA FF00AAFA
	v_mul_f32_dpp v139, v250, v139 quad_perm:[3,3,3,3] row_mask:0xf bank_mask:0xf// 000000010514: 0B1716FA FF00FFFA
	v_mul_f32_dpp v140, v251, v140 quad_perm:[0,0,0,0] row_mask:0xf bank_mask:0xf// 00000001051C: 0B1918FA FF0000FB
	v_mul_f32_dpp v141, v251, v141 quad_perm:[1,1,1,1] row_mask:0xf bank_mask:0xf// 000000010524: 0B1B1AFA FF0055FB
	v_mul_f32_dpp v142, v251, v142 quad_perm:[2,2,2,2] row_mask:0xf bank_mask:0xf// 00000001052C: 0B1D1CFA FF00AAFB
	v_mul_f32_dpp v143, v251, v143 quad_perm:[3,3,3,3] row_mask:0xf bank_mask:0xf// 000000010534: 0B1F1EFA FF00FFFB
	v_mov_b32_e32 v48, v128                                    // 00000001053C: 7E600380
	v_max3_f32 v48, v128, v129, v48                            // 000000010540: D1D30030 04C30380
	v_max3_f32 v48, v130, v131, v48                            // 000000010548: D1D30030 04C30782
	v_max3_f32 v48, v132, v133, v48                            // 000000010550: D1D30030 04C30B84
	v_max3_f32 v48, v134, v135, v48                            // 000000010558: D1D30030 04C30F86
	v_max3_f32 v48, v136, v137, v48                            // 000000010560: D1D30030 04C31388
	v_max3_f32 v48, v138, v139, v48                            // 000000010568: D1D30030 04C3178A
	v_max3_f32 v48, v140, v141, v48                            // 000000010570: D1D30030 04C31B8C
	v_max3_f32 v48, v142, v143, v48                            // 000000010578: D1D30030 04C31F8E
	ds_write_b32 v8, v48 offset:16896                          // 000000010580: D81A4200 00003008
	v_mul_f32_e32 v216, v50, v216                              // 000000010588: 0BB1B132
	v_mul_f32_e32 v217, v50, v217                              // 00000001058C: 0BB3B332
	v_mul_f32_e32 v218, v50, v218                              // 000000010590: 0BB5B532
	v_mul_f32_e32 v219, v50, v219                              // 000000010594: 0BB7B732
	v_mul_f32_e32 v220, v50, v220                              // 000000010598: 0BB9B932
	v_mul_f32_e32 v221, v50, v221                              // 00000001059C: 0BBBBB32
	v_mul_f32_e32 v222, v50, v222                              // 0000000105A0: 0BBDBD32
	v_mul_f32_e32 v223, v50, v223                              // 0000000105A4: 0BBFBF32
	s_waitcnt lgkmcnt(0)                                       // 0000000105A8: BF8CC07F
	s_barrier                                                  // 0000000105AC: BF8A0000
	ds_read_b32 v64, v7 offset:16896                           // 0000000105B0: D86C4200 40000007
	ds_read_b32 v65, v7 offset:16960                           // 0000000105B8: D86C4240 41000007
	ds_read_b32 v66, v7 offset:17024                           // 0000000105C0: D86C4280 42000007
	ds_read_b32 v67, v7 offset:17088                           // 0000000105C8: D86C42C0 43000007
	ds_read_b32 v68, v7 offset:17152                           // 0000000105D0: D86C4300 44000007
	ds_read_b32 v69, v7 offset:17216                           // 0000000105D8: D86C4340 45000007
	ds_read_b32 v70, v7 offset:17280                           // 0000000105E0: D86C4380 46000007
	ds_read_b32 v71, v7 offset:17344                           // 0000000105E8: D86C43C0 47000007
	ds_read_b32 v72, v7 offset:17408                           // 0000000105F0: D86C4400 48000007
	ds_read_b32 v73, v7 offset:17472                           // 0000000105F8: D86C4440 49000007
	ds_read_b32 v74, v7 offset:17536                           // 000000010600: D86C4480 4A000007
	ds_read_b32 v75, v7 offset:17600                           // 000000010608: D86C44C0 4B000007
	ds_read_b32 v76, v7 offset:17664                           // 000000010610: D86C4500 4C000007
	ds_read_b32 v77, v7 offset:17728                           // 000000010618: D86C4540 4D000007
	ds_read_b32 v78, v7 offset:17792                           // 000000010620: D86C4580 4E000007
	ds_read_b32 v79, v7 offset:17856                           // 000000010628: D86C45C0 4F000007
	v_cvt_f32_i32_e32 v184, v184                               // 000000010630: 7F700BB8
	v_cvt_f32_i32_e32 v185, v185                               // 000000010634: 7F720BB9
	v_cvt_f32_i32_e32 v186, v186                               // 000000010638: 7F740BBA
	v_cvt_f32_i32_e32 v187, v187                               // 00000001063C: 7F760BBB
	v_cvt_f32_i32_e32 v188, v188                               // 000000010640: 7F780BBC
	v_cvt_f32_i32_e32 v189, v189                               // 000000010644: 7F7A0BBD
	v_cvt_f32_i32_e32 v190, v190                               // 000000010648: 7F7C0BBE
	v_cvt_f32_i32_e32 v191, v191                               // 00000001064C: 7F7E0BBF
	v_mul_f32_e32 v184, v45, v184                              // 000000010650: 0B71712D
	v_mul_f32_e32 v185, v45, v185                              // 000000010654: 0B73732D
	v_mul_f32_e32 v186, v45, v186                              // 000000010658: 0B75752D
	v_mul_f32_e32 v187, v45, v187                              // 00000001065C: 0B77772D
	v_mul_f32_e32 v188, v45, v188                              // 000000010660: 0B79792D
	v_mul_f32_e32 v189, v45, v189                              // 000000010664: 0B7B7B2D
	v_mul_f32_e32 v190, v45, v190                              // 000000010668: 0B7D7D2D
	v_mul_f32_e32 v191, v45, v191                              // 00000001066C: 0B7F7F2D
	s_waitcnt lgkmcnt(0)                                       // 000000010670: BF8CC07F
	v_max3_f32 v48, v64, v65, v48                              // 000000010674: D1D30030 04C28340
	v_max3_f32 v48, v66, v67, v48                              // 00000001067C: D1D30030 04C28742
	v_max3_f32 v48, v68, v69, v48                              // 000000010684: D1D30030 04C28B44
	v_max3_f32 v48, v70, v71, v48                              // 00000001068C: D1D30030 04C28F46
	v_max3_f32 v48, v72, v73, v48                              // 000000010694: D1D30030 04C29348
	v_max3_f32 v48, v74, v75, v48                              // 00000001069C: D1D30030 04C2974A
	v_max3_f32 v48, v76, v77, v48                              // 0000000106A4: D1D30030 04C29B4C
	v_max3_f32 v48, v78, v79, v48                              // 0000000106AC: D1D30030 04C29F4E
	v_mov_b32_e32 v64, 0xff800000                              // 0000000106B4: 7E8002FF FF800000
	v_cmp_eq_u32_e64 s[40:41], v64, v12                        // 0000000106BC: D0CA0028 00021940
	s_nop 1                                                    // 0000000106C4: BF800001
	v_max_f32_e32 v15, v48, v12                                // 0000000106C8: 161E1930
	v_mul_f32_e32 v53, s64, v15                                // 0000000106CC: 0A6A1E40
	v_fma_f32 v128, v128, s64, -v53                            // 0000000106D0: D1CB0080 84D48180
	v_fma_f32 v129, v129, s64, -v53                            // 0000000106D8: D1CB0081 84D48181
	v_fma_f32 v130, v130, s64, -v53                            // 0000000106E0: D1CB0082 84D48182
	v_fma_f32 v131, v131, s64, -v53                            // 0000000106E8: D1CB0083 84D48183
	v_fma_f32 v132, v132, s64, -v53                            // 0000000106F0: D1CB0084 84D48184
	v_fma_f32 v133, v133, s64, -v53                            // 0000000106F8: D1CB0085 84D48185
	v_fma_f32 v134, v134, s64, -v53                            // 000000010700: D1CB0086 84D48186
	v_fma_f32 v135, v135, s64, -v53                            // 000000010708: D1CB0087 84D48187
	v_fma_f32 v136, v136, s64, -v53                            // 000000010710: D1CB0088 84D48188
	v_fma_f32 v137, v137, s64, -v53                            // 000000010718: D1CB0089 84D48189
	v_fma_f32 v138, v138, s64, -v53                            // 000000010720: D1CB008A 84D4818A
	v_fma_f32 v139, v139, s64, -v53                            // 000000010728: D1CB008B 84D4818B
	v_fma_f32 v140, v140, s64, -v53                            // 000000010730: D1CB008C 84D4818C
	v_fma_f32 v141, v141, s64, -v53                            // 000000010738: D1CB008D 84D4818D
	v_fma_f32 v142, v142, s64, -v53                            // 000000010740: D1CB008E 84D4818E
	v_fma_f32 v143, v143, s64, -v53                            // 000000010748: D1CB008F 84D4818F
	v_exp_f32_e32 v128, v128                                   // 000000010750: 7F004180
	v_exp_f32_e32 v129, v129                                   // 000000010754: 7F024181
	v_exp_f32_e32 v130, v130                                   // 000000010758: 7F044182
	v_exp_f32_e32 v131, v131                                   // 00000001075C: 7F064183
	v_exp_f32_e32 v132, v132                                   // 000000010760: 7F084184
	v_exp_f32_e32 v133, v133                                   // 000000010764: 7F0A4185
	v_exp_f32_e32 v134, v134                                   // 000000010768: 7F0C4186
	v_exp_f32_e32 v135, v135                                   // 00000001076C: 7F0E4187
	v_exp_f32_e32 v136, v136                                   // 000000010770: 7F104188
	v_exp_f32_e32 v137, v137                                   // 000000010774: 7F124189
	v_exp_f32_e32 v138, v138                                   // 000000010778: 7F14418A
	v_exp_f32_e32 v139, v139                                   // 00000001077C: 7F16418B
	v_exp_f32_e32 v140, v140                                   // 000000010780: 7F18418C
	v_exp_f32_e32 v141, v141                                   // 000000010784: 7F1A418D
	v_exp_f32_e32 v142, v142                                   // 000000010788: 7F1C418E
	v_exp_f32_e32 v143, v143                                   // 00000001078C: 7F1E418F
	v_mul_f32_dpp v240, v252, v128 quad_perm:[0,0,0,0] row_mask:0xf bank_mask:0xf// 000000010790: 0BE100FA FF0000FC
	v_mul_f32_dpp v241, v252, v129 quad_perm:[1,1,1,1] row_mask:0xf bank_mask:0xf// 000000010798: 0BE302FA FF0055FC
	v_mul_f32_dpp v242, v252, v130 quad_perm:[2,2,2,2] row_mask:0xf bank_mask:0xf// 0000000107A0: 0BE504FA FF00AAFC
	v_mul_f32_dpp v243, v252, v131 quad_perm:[3,3,3,3] row_mask:0xf bank_mask:0xf// 0000000107A8: 0BE706FA FF00FFFC
	v_mul_f32_dpp v244, v253, v132 quad_perm:[0,0,0,0] row_mask:0xf bank_mask:0xf// 0000000107B0: 0BE908FA FF0000FD
	v_mul_f32_dpp v245, v253, v133 quad_perm:[1,1,1,1] row_mask:0xf bank_mask:0xf// 0000000107B8: 0BEB0AFA FF0055FD
	v_mul_f32_dpp v246, v253, v134 quad_perm:[2,2,2,2] row_mask:0xf bank_mask:0xf// 0000000107C0: 0BED0CFA FF00AAFD
	v_mul_f32_dpp v247, v253, v135 quad_perm:[3,3,3,3] row_mask:0xf bank_mask:0xf// 0000000107C8: 0BEF0EFA FF00FFFD
	v_mul_f32_dpp v248, v254, v136 quad_perm:[0,0,0,0] row_mask:0xf bank_mask:0xf// 0000000107D0: 0BF110FA FF0000FE
	v_mul_f32_dpp v249, v254, v137 quad_perm:[1,1,1,1] row_mask:0xf bank_mask:0xf// 0000000107D8: 0BF312FA FF0055FE
	v_mul_f32_dpp v250, v254, v138 quad_perm:[2,2,2,2] row_mask:0xf bank_mask:0xf// 0000000107E0: 0BF514FA FF00AAFE
	v_mul_f32_dpp v251, v254, v139 quad_perm:[3,3,3,3] row_mask:0xf bank_mask:0xf// 0000000107E8: 0BF716FA FF00FFFE
	v_mul_f32_dpp v252, v255, v140 quad_perm:[0,0,0,0] row_mask:0xf bank_mask:0xf// 0000000107F0: 0BF918FA FF0000FF
	v_mul_f32_dpp v253, v255, v141 quad_perm:[1,1,1,1] row_mask:0xf bank_mask:0xf// 0000000107F8: 0BFB1AFA FF0055FF
	v_mul_f32_dpp v254, v255, v142 quad_perm:[2,2,2,2] row_mask:0xf bank_mask:0xf// 000000010800: 0BFD1CFA FF00AAFF
	v_mul_f32_dpp v255, v255, v143 quad_perm:[3,3,3,3] row_mask:0xf bank_mask:0xf// 000000010808: 0BFF1EFA FF00FFFF
	v_mov_b32_e32 v48, 0x358637bd                              // 000000010810: 7E6002FF 358637BD
	v_max3_f32 v48, |v240|, |v241|, v48                        // 000000010818: D1D30330 04C3E3F0
	v_max3_f32 v48, |v242|, |v243|, v48                        // 000000010820: D1D30330 04C3E7F2
	v_max3_f32 v48, |v244|, |v245|, v48                        // 000000010828: D1D30330 04C3EBF4
	v_max3_f32 v48, |v246|, |v247|, v48                        // 000000010830: D1D30330 04C3EFF6
	v_max3_f32 v48, |v248|, |v249|, v48                        // 000000010838: D1D30330 04C3F3F8
	v_max3_f32 v48, |v250|, |v251|, v48                        // 000000010840: D1D30330 04C3F7FA
	v_max3_f32 v48, |v252|, |v253|, v48                        // 000000010848: D1D30330 04C3FBFC
	v_max3_f32 v48, |v254|, |v255|, v48                        // 000000010850: D1D30330 04C3FFFE
	ds_write_b32 v8, v48 offset:20992                          // 000000010858: D81A5200 00003008
	v_sub_f32_e32 v50, v12, v15                                // 000000010860: 04641F0C
	v_cndmask_b32_e64 v50, v50, 0, s[40:41]                    // 000000010864: D1000032 00A10132
	v_mov_b32_e32 v12, v15                                     // 00000001086C: 7E18030F
	v_mul_f32_e32 v50, s64, v50                                // 000000010870: 0A646440
	v_exp_f32_e32 v50, v50                                     // 000000010874: 7E644132
	s_waitcnt lgkmcnt(0)                                       // 000000010878: BF8CC07F
	s_barrier                                                  // 00000001087C: BF8A0000
	ds_read_b32 v64, v7 offset:20992                           // 000000010880: D86C5200 40000007
	ds_read_b32 v65, v7 offset:21056                           // 000000010888: D86C5240 41000007
	ds_read_b32 v66, v7 offset:21120                           // 000000010890: D86C5280 42000007
	ds_read_b32 v67, v7 offset:21184                           // 000000010898: D86C52C0 43000007
	ds_read_b32 v68, v7 offset:21248                           // 0000000108A0: D86C5300 44000007
	ds_read_b32 v69, v7 offset:21312                           // 0000000108A8: D86C5340 45000007
	ds_read_b32 v70, v7 offset:21376                           // 0000000108B0: D86C5380 46000007
	ds_read_b32 v71, v7 offset:21440                           // 0000000108B8: D86C53C0 47000007
	ds_read_b32 v72, v7 offset:21504                           // 0000000108C0: D86C5400 48000007
	ds_read_b32 v73, v7 offset:21568                           // 0000000108C8: D86C5440 49000007
	ds_read_b32 v74, v7 offset:21632                           // 0000000108D0: D86C5480 4A000007
	ds_read_b32 v75, v7 offset:21696                           // 0000000108D8: D86C54C0 4B000007
	ds_read_b32 v76, v7 offset:21760                           // 0000000108E0: D86C5500 4C000007
	ds_read_b32 v77, v7 offset:21824                           // 0000000108E8: D86C5540 4D000007
	ds_read_b32 v78, v7 offset:21888                           // 0000000108F0: D86C5580 4E000007
	ds_read_b32 v79, v7 offset:21952                           // 0000000108F8: D86C55C0 4F000007
	v_mul_f32_e32 v39, v50, v39                                // 000000010900: 0A4E4F32
	v_mov_b32_e32 v15, v128                                    // 000000010904: 7E1E0380
	v_add_f32_e32 v15, v129, v15                               // 000000010908: 021E1F81
	v_add_f32_e32 v15, v130, v15                               // 00000001090C: 021E1F82
	v_add_f32_e32 v15, v131, v15                               // 000000010910: 021E1F83
	v_add_f32_e32 v15, v132, v15                               // 000000010914: 021E1F84
	v_add_f32_e32 v15, v133, v15                               // 000000010918: 021E1F85
	v_add_f32_e32 v15, v134, v15                               // 00000001091C: 021E1F86
	v_add_f32_e32 v15, v135, v15                               // 000000010920: 021E1F87
	v_add_f32_e32 v15, v136, v15                               // 000000010924: 021E1F88
	v_add_f32_e32 v15, v137, v15                               // 000000010928: 021E1F89
	v_add_f32_e32 v15, v138, v15                               // 00000001092C: 021E1F8A
	v_add_f32_e32 v15, v139, v15                               // 000000010930: 021E1F8B
	v_add_f32_e32 v15, v140, v15                               // 000000010934: 021E1F8C
	v_add_f32_e32 v15, v141, v15                               // 000000010938: 021E1F8D
	v_add_f32_e32 v15, v142, v15                               // 00000001093C: 021E1F8E
	v_add_f32_e32 v15, v143, v15                               // 000000010940: 021E1F8F
	v_add_f32_e32 v39, v15, v39                                // 000000010944: 024E4F0F
	s_waitcnt lgkmcnt(0)                                       // 000000010948: BF8CC07F
	v_max3_f32 v48, |v64|, |v65|, v48                          // 00000001094C: D1D30330 04C28340
	v_max3_f32 v48, |v66|, |v67|, v48                          // 000000010954: D1D30330 04C28742
	v_max3_f32 v48, |v68|, |v69|, v48                          // 00000001095C: D1D30330 04C28B44
	v_max3_f32 v48, |v70|, |v71|, v48                          // 000000010964: D1D30330 04C28F46
	v_max3_f32 v48, |v72|, |v73|, v48                          // 00000001096C: D1D30330 04C29348
	v_max3_f32 v48, |v74|, |v75|, v48                          // 000000010974: D1D30330 04C2974A
	v_max3_f32 v48, |v76|, |v77|, v48                          // 00000001097C: D1D30330 04C29B4C
	v_max3_f32 v48, |v78|, |v79|, v48                          // 000000010984: D1D30330 04C29F4E
	s_nop 2                                                    // 00000001098C: BF800002
	v_rcp_f32_e32 v48, v48                                     // 000000010990: 7E604530
	s_nop 1                                                    // 000000010994: BF800001
	v_mul_f32_e32 v48, 0x42fe0000, v48                         // 000000010998: 0A6060FF 42FE0000
	v_mul_f32_e32 v128, v48, v240                              // 0000000109A0: 0B01E130
	v_mul_f32_e32 v129, v48, v241                              // 0000000109A4: 0B03E330
	v_mul_f32_e32 v130, v48, v242                              // 0000000109A8: 0B05E530
	v_mul_f32_e32 v131, v48, v243                              // 0000000109AC: 0B07E730
	v_mul_f32_e32 v132, v48, v244                              // 0000000109B0: 0B09E930
	v_mul_f32_e32 v133, v48, v245                              // 0000000109B4: 0B0BEB30
	v_mul_f32_e32 v134, v48, v246                              // 0000000109B8: 0B0DED30
	v_mul_f32_e32 v135, v48, v247                              // 0000000109BC: 0B0FEF30
	v_mul_f32_e32 v136, v48, v248                              // 0000000109C0: 0B11F130
	v_mul_f32_e32 v137, v48, v249                              // 0000000109C4: 0B13F330
	v_mul_f32_e32 v138, v48, v250                              // 0000000109C8: 0B15F530
	v_mul_f32_e32 v139, v48, v251                              // 0000000109CC: 0B17F730
	v_mul_f32_e32 v140, v48, v252                              // 0000000109D0: 0B19F930
	v_mul_f32_e32 v141, v48, v253                              // 0000000109D4: 0B1BFB30
	v_mul_f32_e32 v142, v48, v254                              // 0000000109D8: 0B1DFD30
	v_mul_f32_e32 v143, v48, v255                              // 0000000109DC: 0B1FFF30
	v_cvt_i32_f32_e32 v128, v128                               // 0000000109E0: 7F001180
	v_cvt_i32_f32_e32 v129, v129                               // 0000000109E4: 7F021181
	v_cvt_i32_f32_e32 v130, v130                               // 0000000109E8: 7F041182
	v_cvt_i32_f32_e32 v131, v131                               // 0000000109EC: 7F061183
	v_cvt_i32_f32_e32 v132, v132                               // 0000000109F0: 7F081184
	v_cvt_i32_f32_e32 v133, v133                               // 0000000109F4: 7F0A1185
	v_cvt_i32_f32_e32 v134, v134                               // 0000000109F8: 7F0C1186
	v_cvt_i32_f32_e32 v135, v135                               // 0000000109FC: 7F0E1187
	v_cvt_i32_f32_e32 v136, v136                               // 000000010A00: 7F101188
	v_cvt_i32_f32_e32 v137, v137                               // 000000010A04: 7F121189
	v_cvt_i32_f32_e32 v138, v138                               // 000000010A08: 7F14118A
	v_cvt_i32_f32_e32 v139, v139                               // 000000010A0C: 7F16118B
	v_cvt_i32_f32_e32 v140, v140                               // 000000010A10: 7F18118C
	v_cvt_i32_f32_e32 v141, v141                               // 000000010A14: 7F1A118D
	v_cvt_i32_f32_e32 v142, v142                               // 000000010A18: 7F1C118E
	v_cvt_i32_f32_e32 v143, v143                               // 000000010A1C: 7F1E118F
	v_perm_b32 v128, v129, v128, s53                           // 000000010A20: D1ED0080 00D70181
	v_perm_b32 v128, v130, v128, s54                           // 000000010A28: D1ED0080 00DB0182
	v_perm_b32 v128, v131, v128, s55                           // 000000010A30: D1ED0080 00DF0183
	v_perm_b32 v129, v133, v132, s53                           // 000000010A38: D1ED0081 00D70985
	v_perm_b32 v129, v134, v129, s54                           // 000000010A40: D1ED0081 00DB0386
	v_perm_b32 v129, v135, v129, s55                           // 000000010A48: D1ED0081 00DF0387
	v_perm_b32 v130, v137, v136, s53                           // 000000010A50: D1ED0082 00D71189
	v_perm_b32 v130, v138, v130, s54                           // 000000010A58: D1ED0082 00DB058A
	v_perm_b32 v130, v139, v130, s55                           // 000000010A60: D1ED0082 00DF058B
	v_perm_b32 v131, v141, v140, s53                           // 000000010A68: D1ED0083 00D7198D
	v_perm_b32 v131, v142, v131, s54                           // 000000010A70: D1ED0083 00DB078E
	v_perm_b32 v131, v143, v131, s55                           // 000000010A78: D1ED0083 00DF078F
	ds_write_b32 v10, v128 offset:29184                        // 000000010A80: D81A7200 0000800A
	ds_write_b32 v10, v129 offset:30208                        // 000000010A88: D81A7600 0000810A
	ds_write_b32 v10, v130 offset:31232                        // 000000010A90: D81A7A00 0000820A
	ds_write_b32 v10, v131 offset:32256                        // 000000010A98: D81A7E00 0000830A
	v_add_f32_e32 v216, v216, v184                             // 000000010AA0: 03B171D8
	v_add_f32_e32 v217, v217, v185                             // 000000010AA4: 03B373D9
	v_add_f32_e32 v218, v218, v186                             // 000000010AA8: 03B575DA
	v_add_f32_e32 v219, v219, v187                             // 000000010AAC: 03B777DB
	v_add_f32_e32 v220, v220, v188                             // 000000010AB0: 03B979DC
	v_add_f32_e32 v221, v221, v189                             // 000000010AB4: 03BB7BDD
	v_add_f32_e32 v222, v222, v190                             // 000000010AB8: 03BD7DDE
	v_add_f32_e32 v223, v223, v191                             // 000000010ABC: 03BF7FDF
	v_rcp_f32_e32 v45, v48                                     // 000000010AC0: 7E5A4530
	s_waitcnt lgkmcnt(0)                                       // 000000010AC4: BF8CC07F
	s_barrier                                                  // 000000010AC8: BF8A0000
	ds_read_b64 v[128:129], v9 offset:29184                    // 000000010ACC: D8EC7200 80000009
	ds_read_b64 v[130:131], v9 offset:29312                    // 000000010AD4: D8EC7280 82000009
	ds_read_b64 v[132:133], v9 offset:30208                    // 000000010ADC: D8EC7600 84000009
	ds_read_b64 v[134:135], v9 offset:30336                    // 000000010AE4: D8EC7680 86000009
	ds_read_b64 v[136:137], v9 offset:31232                    // 000000010AEC: D8EC7A00 88000009
	ds_read_b64 v[138:139], v9 offset:31360                    // 000000010AF4: D8EC7A80 8A000009
	ds_read_b64 v[140:141], v9 offset:32256                    // 000000010AFC: D8EC7E00 8C000009
	ds_read_b64 v[142:143], v9 offset:32384                    // 000000010B04: D8EC7E80 8E000009
	v_mov_b32_dpp v64, v42 row_shr:4 row_mask:0xf bank_mask:0xf// 000000010B0C: 7E8002FA FF01142A
	v_mov_b32_dpp v65, v42 row_shl:4 row_mask:0xf bank_mask:0xf// 000000010B14: 7E8202FA FF01042A
	v_cndmask_b32_e64 v248, v42, v64, s[44:45]                 // 000000010B1C: D10000F8 00B2812A
	v_cndmask_b32_e64 v249, v65, v42, s[44:45]                 // 000000010B24: D10000F9 00B25541
	v_mov_b32_dpp v64, v248 row_shr:8 row_mask:0xf bank_mask:0xf// 000000010B2C: 7E8002FA FF0118F8
	v_mov_b32_dpp v65, v248 row_shl:8 row_mask:0xf bank_mask:0xf// 000000010B34: 7E8202FA FF0108F8
	v_mov_b32_dpp v66, v249 row_shr:8 row_mask:0xf bank_mask:0xf// 000000010B3C: 7E8402FA FF0118F9
	v_mov_b32_dpp v67, v249 row_shl:8 row_mask:0xf bank_mask:0xf// 000000010B44: 7E8602FA FF0108F9
	v_mov_b32_e32 v68, v248                                    // 000000010B4C: 7E8803F8
	v_mov_b32_e32 v69, v249                                    // 000000010B50: 7E8A03F9
	v_cndmask_b32_e64 v248, v68, v64, s[42:43]                 // 000000010B54: D10000F8 00AA8144
	v_cndmask_b32_e64 v250, v68, v65, s[78:79]                 // 000000010B5C: D10000FA 013A8344
	v_cndmask_b32_e64 v249, v69, v66, s[42:43]                 // 000000010B64: D10000F9 00AA8545
	v_cndmask_b32_e64 v251, v69, v67, s[78:79]                 // 000000010B6C: D10000FB 013A8745
	v_mov_b32_dpp v64, v57 row_shr:4 row_mask:0xf bank_mask:0xf// 000000010B74: 7E8002FA FF011439
	v_mov_b32_dpp v65, v57 row_shl:4 row_mask:0xf bank_mask:0xf// 000000010B7C: 7E8202FA FF010439
	v_cndmask_b32_e64 v252, v57, v64, s[44:45]                 // 000000010B84: D10000FC 00B28139
	v_cndmask_b32_e64 v253, v65, v57, s[44:45]                 // 000000010B8C: D10000FD 00B27341
	v_mov_b32_dpp v64, v252 row_shr:8 row_mask:0xf bank_mask:0xf// 000000010B94: 7E8002FA FF0118FC
	v_mov_b32_dpp v65, v252 row_shl:8 row_mask:0xf bank_mask:0xf// 000000010B9C: 7E8202FA FF0108FC
	v_mov_b32_dpp v66, v253 row_shr:8 row_mask:0xf bank_mask:0xf// 000000010BA4: 7E8402FA FF0118FD
	v_mov_b32_dpp v67, v253 row_shl:8 row_mask:0xf bank_mask:0xf// 000000010BAC: 7E8602FA FF0108FD
	v_mov_b32_e32 v68, v252                                    // 000000010BB4: 7E8803FC
	v_mov_b32_e32 v69, v253                                    // 000000010BB8: 7E8A03FD
	v_cndmask_b32_e64 v252, v68, v64, s[42:43]                 // 000000010BBC: D10000FC 00AA8144
	v_cndmask_b32_e64 v254, v68, v65, s[78:79]                 // 000000010BC4: D10000FE 013A8344
	v_cndmask_b32_e64 v253, v69, v66, s[42:43]                 // 000000010BCC: D10000FD 00AA8545
	v_cndmask_b32_e64 v255, v69, v67, s[78:79]                 // 000000010BD4: D10000FF 013A8745
	v_cvt_f32_i32_e32 v144, v144                               // 000000010BDC: 7F200B90
	v_cvt_f32_i32_e32 v145, v145                               // 000000010BE0: 7F220B91
	v_cvt_f32_i32_e32 v146, v146                               // 000000010BE4: 7F240B92
	v_cvt_f32_i32_e32 v147, v147                               // 000000010BE8: 7F260B93
	v_cvt_f32_i32_e32 v148, v148                               // 000000010BEC: 7F280B94
	v_cvt_f32_i32_e32 v149, v149                               // 000000010BF0: 7F2A0B95
	v_cvt_f32_i32_e32 v150, v150                               // 000000010BF4: 7F2C0B96
	v_cvt_f32_i32_e32 v151, v151                               // 000000010BF8: 7F2E0B97
	v_cvt_f32_i32_e32 v152, v152                               // 000000010BFC: 7F300B98
	v_cvt_f32_i32_e32 v153, v153                               // 000000010C00: 7F320B99
	v_cvt_f32_i32_e32 v154, v154                               // 000000010C04: 7F340B9A
	v_cvt_f32_i32_e32 v155, v155                               // 000000010C08: 7F360B9B
	v_cvt_f32_i32_e32 v156, v156                               // 000000010C0C: 7F380B9C
	v_cvt_f32_i32_e32 v157, v157                               // 000000010C10: 7F3A0B9D
	v_cvt_f32_i32_e32 v158, v158                               // 000000010C14: 7F3C0B9E
	v_cvt_f32_i32_e32 v159, v159                               // 000000010C18: 7F3E0B9F
	v_mul_f32_e32 v144, v20, v144                              // 000000010C1C: 0B212114
	v_mul_f32_e32 v145, v20, v145                              // 000000010C20: 0B232314
	v_mul_f32_e32 v146, v20, v146                              // 000000010C24: 0B252514
	v_mul_f32_e32 v147, v20, v147                              // 000000010C28: 0B272714
	v_mul_f32_e32 v148, v20, v148                              // 000000010C2C: 0B292914
	v_mul_f32_e32 v149, v20, v149                              // 000000010C30: 0B2B2B14
	v_mul_f32_e32 v150, v20, v150                              // 000000010C34: 0B2D2D14
	v_mul_f32_e32 v151, v20, v151                              // 000000010C38: 0B2F2F14
	v_mul_f32_e32 v152, v20, v152                              // 000000010C3C: 0B313114
	v_mul_f32_e32 v153, v20, v153                              // 000000010C40: 0B333314
	v_mul_f32_e32 v154, v20, v154                              // 000000010C44: 0B353514
	v_mul_f32_e32 v155, v20, v155                              // 000000010C48: 0B373714
	v_mul_f32_e32 v156, v20, v156                              // 000000010C4C: 0B393914
	v_mul_f32_e32 v157, v20, v157                              // 000000010C50: 0B3B3B14
	v_mul_f32_e32 v158, v20, v158                              // 000000010C54: 0B3D3D14
	v_mul_f32_e32 v159, v20, v159                              // 000000010C58: 0B3F3F14
	v_mul_f32_dpp v144, v248, v144 quad_perm:[0,0,0,0] row_mask:0xf bank_mask:0xf// 000000010C5C: 0B2120FA FF0000F8
	v_mul_f32_dpp v145, v248, v145 quad_perm:[1,1,1,1] row_mask:0xf bank_mask:0xf// 000000010C64: 0B2322FA FF0055F8
	v_mul_f32_dpp v146, v248, v146 quad_perm:[2,2,2,2] row_mask:0xf bank_mask:0xf// 000000010C6C: 0B2524FA FF00AAF8
	v_mul_f32_dpp v147, v248, v147 quad_perm:[3,3,3,3] row_mask:0xf bank_mask:0xf// 000000010C74: 0B2726FA FF00FFF8
	v_mul_f32_dpp v148, v249, v148 quad_perm:[0,0,0,0] row_mask:0xf bank_mask:0xf// 000000010C7C: 0B2928FA FF0000F9
	v_mul_f32_dpp v149, v249, v149 quad_perm:[1,1,1,1] row_mask:0xf bank_mask:0xf// 000000010C84: 0B2B2AFA FF0055F9
	v_mul_f32_dpp v150, v249, v150 quad_perm:[2,2,2,2] row_mask:0xf bank_mask:0xf// 000000010C8C: 0B2D2CFA FF00AAF9
	v_mul_f32_dpp v151, v249, v151 quad_perm:[3,3,3,3] row_mask:0xf bank_mask:0xf// 000000010C94: 0B2F2EFA FF00FFF9
	v_mul_f32_dpp v152, v250, v152 quad_perm:[0,0,0,0] row_mask:0xf bank_mask:0xf// 000000010C9C: 0B3130FA FF0000FA
	v_mul_f32_dpp v153, v250, v153 quad_perm:[1,1,1,1] row_mask:0xf bank_mask:0xf// 000000010CA4: 0B3332FA FF0055FA
	v_mul_f32_dpp v154, v250, v154 quad_perm:[2,2,2,2] row_mask:0xf bank_mask:0xf// 000000010CAC: 0B3534FA FF00AAFA
	v_mul_f32_dpp v155, v250, v155 quad_perm:[3,3,3,3] row_mask:0xf bank_mask:0xf// 000000010CB4: 0B3736FA FF00FFFA
	v_mul_f32_dpp v156, v251, v156 quad_perm:[0,0,0,0] row_mask:0xf bank_mask:0xf// 000000010CBC: 0B3938FA FF0000FB
	v_mul_f32_dpp v157, v251, v157 quad_perm:[1,1,1,1] row_mask:0xf bank_mask:0xf// 000000010CC4: 0B3B3AFA FF0055FB
	v_mul_f32_dpp v158, v251, v158 quad_perm:[2,2,2,2] row_mask:0xf bank_mask:0xf// 000000010CCC: 0B3D3CFA FF00AAFB
	v_mul_f32_dpp v159, v251, v159 quad_perm:[3,3,3,3] row_mask:0xf bank_mask:0xf// 000000010CD4: 0B3F3EFA FF00FFFB
	v_mov_b32_e32 v48, v144                                    // 000000010CDC: 7E600390
	v_max3_f32 v48, v144, v145, v48                            // 000000010CE0: D1D30030 04C32390
	v_max3_f32 v48, v146, v147, v48                            // 000000010CE8: D1D30030 04C32792
	v_max3_f32 v48, v148, v149, v48                            // 000000010CF0: D1D30030 04C32B94
	v_max3_f32 v48, v150, v151, v48                            // 000000010CF8: D1D30030 04C32F96
	v_max3_f32 v48, v152, v153, v48                            // 000000010D00: D1D30030 04C33398
	v_max3_f32 v48, v154, v155, v48                            // 000000010D08: D1D30030 04C3379A
	v_max3_f32 v48, v156, v157, v48                            // 000000010D10: D1D30030 04C33B9C
	v_max3_f32 v48, v158, v159, v48                            // 000000010D18: D1D30030 04C33F9E
	ds_write_b32 v8, v48 offset:16896                          // 000000010D20: D81A4200 00003008
	v_mul_f32_e32 v224, v51, v224                              // 000000010D28: 0BC1C133
	v_mul_f32_e32 v225, v51, v225                              // 000000010D2C: 0BC3C333
	v_mul_f32_e32 v226, v51, v226                              // 000000010D30: 0BC5C533
	v_mul_f32_e32 v227, v51, v227                              // 000000010D34: 0BC7C733
	v_mul_f32_e32 v228, v51, v228                              // 000000010D38: 0BC9C933
	v_mul_f32_e32 v229, v51, v229                              // 000000010D3C: 0BCBCB33
	v_mul_f32_e32 v230, v51, v230                              // 000000010D40: 0BCDCD33
	v_mul_f32_e32 v231, v51, v231                              // 000000010D44: 0BCFCF33
	s_waitcnt lgkmcnt(0)                                       // 000000010D48: BF8CC07F
	s_barrier                                                  // 000000010D4C: BF8A0000
	ds_read_b32 v64, v7 offset:16896                           // 000000010D50: D86C4200 40000007
	ds_read_b32 v65, v7 offset:16960                           // 000000010D58: D86C4240 41000007
	ds_read_b32 v66, v7 offset:17024                           // 000000010D60: D86C4280 42000007
	ds_read_b32 v67, v7 offset:17088                           // 000000010D68: D86C42C0 43000007
	ds_read_b32 v68, v7 offset:17152                           // 000000010D70: D86C4300 44000007
	ds_read_b32 v69, v7 offset:17216                           // 000000010D78: D86C4340 45000007
	ds_read_b32 v70, v7 offset:17280                           // 000000010D80: D86C4380 46000007
	ds_read_b32 v71, v7 offset:17344                           // 000000010D88: D86C43C0 47000007
	ds_read_b32 v72, v7 offset:17408                           // 000000010D90: D86C4400 48000007
	ds_read_b32 v73, v7 offset:17472                           // 000000010D98: D86C4440 49000007
	ds_read_b32 v74, v7 offset:17536                           // 000000010DA0: D86C4480 4A000007
	ds_read_b32 v75, v7 offset:17600                           // 000000010DA8: D86C44C0 4B000007
	ds_read_b32 v76, v7 offset:17664                           // 000000010DB0: D86C4500 4C000007
	ds_read_b32 v77, v7 offset:17728                           // 000000010DB8: D86C4540 4D000007
	ds_read_b32 v78, v7 offset:17792                           // 000000010DC0: D86C4580 4E000007
	ds_read_b32 v79, v7 offset:17856                           // 000000010DC8: D86C45C0 4F000007
	v_cvt_f32_i32_e32 v192, v192                               // 000000010DD0: 7F800BC0
	v_cvt_f32_i32_e32 v193, v193                               // 000000010DD4: 7F820BC1
	v_cvt_f32_i32_e32 v194, v194                               // 000000010DD8: 7F840BC2
	v_cvt_f32_i32_e32 v195, v195                               // 000000010DDC: 7F860BC3
	v_cvt_f32_i32_e32 v196, v196                               // 000000010DE0: 7F880BC4
	v_cvt_f32_i32_e32 v197, v197                               // 000000010DE4: 7F8A0BC5
	v_cvt_f32_i32_e32 v198, v198                               // 000000010DE8: 7F8C0BC6
	v_cvt_f32_i32_e32 v199, v199                               // 000000010DEC: 7F8E0BC7
	v_mul_f32_e32 v192, v46, v192                              // 000000010DF0: 0B81812E
	v_mul_f32_e32 v193, v46, v193                              // 000000010DF4: 0B83832E
	v_mul_f32_e32 v194, v46, v194                              // 000000010DF8: 0B85852E
	v_mul_f32_e32 v195, v46, v195                              // 000000010DFC: 0B87872E
	v_mul_f32_e32 v196, v46, v196                              // 000000010E00: 0B89892E
	v_mul_f32_e32 v197, v46, v197                              // 000000010E04: 0B8B8B2E
	v_mul_f32_e32 v198, v46, v198                              // 000000010E08: 0B8D8D2E
	v_mul_f32_e32 v199, v46, v199                              // 000000010E0C: 0B8F8F2E
	s_waitcnt lgkmcnt(0)                                       // 000000010E10: BF8CC07F
	v_max3_f32 v48, v64, v65, v48                              // 000000010E14: D1D30030 04C28340
	v_max3_f32 v48, v66, v67, v48                              // 000000010E1C: D1D30030 04C28742
	v_max3_f32 v48, v68, v69, v48                              // 000000010E24: D1D30030 04C28B44
	v_max3_f32 v48, v70, v71, v48                              // 000000010E2C: D1D30030 04C28F46
	v_max3_f32 v48, v72, v73, v48                              // 000000010E34: D1D30030 04C29348
	v_max3_f32 v48, v74, v75, v48                              // 000000010E3C: D1D30030 04C2974A
	v_max3_f32 v48, v76, v77, v48                              // 000000010E44: D1D30030 04C29B4C
	v_max3_f32 v48, v78, v79, v48                              // 000000010E4C: D1D30030 04C29F4E
	v_mov_b32_e32 v64, 0xff800000                              // 000000010E54: 7E8002FF FF800000
	v_cmp_eq_u32_e64 s[40:41], v64, v13                        // 000000010E5C: D0CA0028 00021B40
	s_nop 1                                                    // 000000010E64: BF800001
	v_max_f32_e32 v15, v48, v13                                // 000000010E68: 161E1B30
	v_mul_f32_e32 v53, s64, v15                                // 000000010E6C: 0A6A1E40
	v_fma_f32 v144, v144, s64, -v53                            // 000000010E70: D1CB0090 84D48190
	v_fma_f32 v145, v145, s64, -v53                            // 000000010E78: D1CB0091 84D48191
	v_fma_f32 v146, v146, s64, -v53                            // 000000010E80: D1CB0092 84D48192
	v_fma_f32 v147, v147, s64, -v53                            // 000000010E88: D1CB0093 84D48193
	v_fma_f32 v148, v148, s64, -v53                            // 000000010E90: D1CB0094 84D48194
	v_fma_f32 v149, v149, s64, -v53                            // 000000010E98: D1CB0095 84D48195
	v_fma_f32 v150, v150, s64, -v53                            // 000000010EA0: D1CB0096 84D48196
	v_fma_f32 v151, v151, s64, -v53                            // 000000010EA8: D1CB0097 84D48197
	v_fma_f32 v152, v152, s64, -v53                            // 000000010EB0: D1CB0098 84D48198
	v_fma_f32 v153, v153, s64, -v53                            // 000000010EB8: D1CB0099 84D48199
	v_fma_f32 v154, v154, s64, -v53                            // 000000010EC0: D1CB009A 84D4819A
	v_fma_f32 v155, v155, s64, -v53                            // 000000010EC8: D1CB009B 84D4819B
	v_fma_f32 v156, v156, s64, -v53                            // 000000010ED0: D1CB009C 84D4819C
	v_fma_f32 v157, v157, s64, -v53                            // 000000010ED8: D1CB009D 84D4819D
	v_fma_f32 v158, v158, s64, -v53                            // 000000010EE0: D1CB009E 84D4819E
	v_fma_f32 v159, v159, s64, -v53                            // 000000010EE8: D1CB009F 84D4819F
	v_exp_f32_e32 v144, v144                                   // 000000010EF0: 7F204190
	v_exp_f32_e32 v145, v145                                   // 000000010EF4: 7F224191
	v_exp_f32_e32 v146, v146                                   // 000000010EF8: 7F244192
	v_exp_f32_e32 v147, v147                                   // 000000010EFC: 7F264193
	v_exp_f32_e32 v148, v148                                   // 000000010F00: 7F284194
	v_exp_f32_e32 v149, v149                                   // 000000010F04: 7F2A4195
	v_exp_f32_e32 v150, v150                                   // 000000010F08: 7F2C4196
	v_exp_f32_e32 v151, v151                                   // 000000010F0C: 7F2E4197
	v_exp_f32_e32 v152, v152                                   // 000000010F10: 7F304198
	v_exp_f32_e32 v153, v153                                   // 000000010F14: 7F324199
	v_exp_f32_e32 v154, v154                                   // 000000010F18: 7F34419A
	v_exp_f32_e32 v155, v155                                   // 000000010F1C: 7F36419B
	v_exp_f32_e32 v156, v156                                   // 000000010F20: 7F38419C
	v_exp_f32_e32 v157, v157                                   // 000000010F24: 7F3A419D
	v_exp_f32_e32 v158, v158                                   // 000000010F28: 7F3C419E
	v_exp_f32_e32 v159, v159                                   // 000000010F2C: 7F3E419F
	v_mul_f32_dpp v240, v252, v144 quad_perm:[0,0,0,0] row_mask:0xf bank_mask:0xf// 000000010F30: 0BE120FA FF0000FC
	v_mul_f32_dpp v241, v252, v145 quad_perm:[1,1,1,1] row_mask:0xf bank_mask:0xf// 000000010F38: 0BE322FA FF0055FC
	v_mul_f32_dpp v242, v252, v146 quad_perm:[2,2,2,2] row_mask:0xf bank_mask:0xf// 000000010F40: 0BE524FA FF00AAFC
	v_mul_f32_dpp v243, v252, v147 quad_perm:[3,3,3,3] row_mask:0xf bank_mask:0xf// 000000010F48: 0BE726FA FF00FFFC
	v_mul_f32_dpp v244, v253, v148 quad_perm:[0,0,0,0] row_mask:0xf bank_mask:0xf// 000000010F50: 0BE928FA FF0000FD
	v_mul_f32_dpp v245, v253, v149 quad_perm:[1,1,1,1] row_mask:0xf bank_mask:0xf// 000000010F58: 0BEB2AFA FF0055FD
	v_mul_f32_dpp v246, v253, v150 quad_perm:[2,2,2,2] row_mask:0xf bank_mask:0xf// 000000010F60: 0BED2CFA FF00AAFD
	v_mul_f32_dpp v247, v253, v151 quad_perm:[3,3,3,3] row_mask:0xf bank_mask:0xf// 000000010F68: 0BEF2EFA FF00FFFD
	v_mul_f32_dpp v248, v254, v152 quad_perm:[0,0,0,0] row_mask:0xf bank_mask:0xf// 000000010F70: 0BF130FA FF0000FE
	v_mul_f32_dpp v249, v254, v153 quad_perm:[1,1,1,1] row_mask:0xf bank_mask:0xf// 000000010F78: 0BF332FA FF0055FE
	v_mul_f32_dpp v250, v254, v154 quad_perm:[2,2,2,2] row_mask:0xf bank_mask:0xf// 000000010F80: 0BF534FA FF00AAFE
	v_mul_f32_dpp v251, v254, v155 quad_perm:[3,3,3,3] row_mask:0xf bank_mask:0xf// 000000010F88: 0BF736FA FF00FFFE
	v_mul_f32_dpp v252, v255, v156 quad_perm:[0,0,0,0] row_mask:0xf bank_mask:0xf// 000000010F90: 0BF938FA FF0000FF
	v_mul_f32_dpp v253, v255, v157 quad_perm:[1,1,1,1] row_mask:0xf bank_mask:0xf// 000000010F98: 0BFB3AFA FF0055FF
	v_mul_f32_dpp v254, v255, v158 quad_perm:[2,2,2,2] row_mask:0xf bank_mask:0xf// 000000010FA0: 0BFD3CFA FF00AAFF
	v_mul_f32_dpp v255, v255, v159 quad_perm:[3,3,3,3] row_mask:0xf bank_mask:0xf// 000000010FA8: 0BFF3EFA FF00FFFF
	v_mov_b32_e32 v48, 0x358637bd                              // 000000010FB0: 7E6002FF 358637BD
	v_max3_f32 v48, |v240|, |v241|, v48                        // 000000010FB8: D1D30330 04C3E3F0
	v_max3_f32 v48, |v242|, |v243|, v48                        // 000000010FC0: D1D30330 04C3E7F2
	v_max3_f32 v48, |v244|, |v245|, v48                        // 000000010FC8: D1D30330 04C3EBF4
	v_max3_f32 v48, |v246|, |v247|, v48                        // 000000010FD0: D1D30330 04C3EFF6
	v_max3_f32 v48, |v248|, |v249|, v48                        // 000000010FD8: D1D30330 04C3F3F8
	v_max3_f32 v48, |v250|, |v251|, v48                        // 000000010FE0: D1D30330 04C3F7FA
	v_max3_f32 v48, |v252|, |v253|, v48                        // 000000010FE8: D1D30330 04C3FBFC
	v_max3_f32 v48, |v254|, |v255|, v48                        // 000000010FF0: D1D30330 04C3FFFE
	ds_write_b32 v8, v48 offset:20992                          // 000000010FF8: D81A5200 00003008
	v_sub_f32_e32 v51, v13, v15                                // 000000011000: 04661F0D
	v_cndmask_b32_e64 v51, v51, 0, s[40:41]                    // 000000011004: D1000033 00A10133
	v_mov_b32_e32 v13, v15                                     // 00000001100C: 7E1A030F
	v_mul_f32_e32 v51, s64, v51                                // 000000011010: 0A666640
	v_exp_f32_e32 v51, v51                                     // 000000011014: 7E664133
	s_waitcnt lgkmcnt(0)                                       // 000000011018: BF8CC07F
	s_barrier                                                  // 00000001101C: BF8A0000
	ds_read_b32 v64, v7 offset:20992                           // 000000011020: D86C5200 40000007
	ds_read_b32 v65, v7 offset:21056                           // 000000011028: D86C5240 41000007
	ds_read_b32 v66, v7 offset:21120                           // 000000011030: D86C5280 42000007
	ds_read_b32 v67, v7 offset:21184                           // 000000011038: D86C52C0 43000007
	ds_read_b32 v68, v7 offset:21248                           // 000000011040: D86C5300 44000007
	ds_read_b32 v69, v7 offset:21312                           // 000000011048: D86C5340 45000007
	ds_read_b32 v70, v7 offset:21376                           // 000000011050: D86C5380 46000007
	ds_read_b32 v71, v7 offset:21440                           // 000000011058: D86C53C0 47000007
	ds_read_b32 v72, v7 offset:21504                           // 000000011060: D86C5400 48000007
	ds_read_b32 v73, v7 offset:21568                           // 000000011068: D86C5440 49000007
	ds_read_b32 v74, v7 offset:21632                           // 000000011070: D86C5480 4A000007
	ds_read_b32 v75, v7 offset:21696                           // 000000011078: D86C54C0 4B000007
	ds_read_b32 v76, v7 offset:21760                           // 000000011080: D86C5500 4C000007
	ds_read_b32 v77, v7 offset:21824                           // 000000011088: D86C5540 4D000007
	ds_read_b32 v78, v7 offset:21888                           // 000000011090: D86C5580 4E000007
	ds_read_b32 v79, v7 offset:21952                           // 000000011098: D86C55C0 4F000007
	v_mul_f32_e32 v40, v51, v40                                // 0000000110A0: 0A505133
	v_mov_b32_e32 v15, v144                                    // 0000000110A4: 7E1E0390
	v_add_f32_e32 v15, v145, v15                               // 0000000110A8: 021E1F91
	v_add_f32_e32 v15, v146, v15                               // 0000000110AC: 021E1F92
	v_add_f32_e32 v15, v147, v15                               // 0000000110B0: 021E1F93
	v_add_f32_e32 v15, v148, v15                               // 0000000110B4: 021E1F94
	v_add_f32_e32 v15, v149, v15                               // 0000000110B8: 021E1F95
	v_add_f32_e32 v15, v150, v15                               // 0000000110BC: 021E1F96
	v_add_f32_e32 v15, v151, v15                               // 0000000110C0: 021E1F97
	v_add_f32_e32 v15, v152, v15                               // 0000000110C4: 021E1F98
	v_add_f32_e32 v15, v153, v15                               // 0000000110C8: 021E1F99
	v_add_f32_e32 v15, v154, v15                               // 0000000110CC: 021E1F9A
	v_add_f32_e32 v15, v155, v15                               // 0000000110D0: 021E1F9B
	v_add_f32_e32 v15, v156, v15                               // 0000000110D4: 021E1F9C
	v_add_f32_e32 v15, v157, v15                               // 0000000110D8: 021E1F9D
	v_add_f32_e32 v15, v158, v15                               // 0000000110DC: 021E1F9E
	v_add_f32_e32 v15, v159, v15                               // 0000000110E0: 021E1F9F
	v_add_f32_e32 v40, v15, v40                                // 0000000110E4: 0250510F
	s_waitcnt lgkmcnt(0)                                       // 0000000110E8: BF8CC07F
	v_max3_f32 v48, |v64|, |v65|, v48                          // 0000000110EC: D1D30330 04C28340
	v_max3_f32 v48, |v66|, |v67|, v48                          // 0000000110F4: D1D30330 04C28742
	v_max3_f32 v48, |v68|, |v69|, v48                          // 0000000110FC: D1D30330 04C28B44
	v_max3_f32 v48, |v70|, |v71|, v48                          // 000000011104: D1D30330 04C28F46
	v_max3_f32 v48, |v72|, |v73|, v48                          // 00000001110C: D1D30330 04C29348
	v_max3_f32 v48, |v74|, |v75|, v48                          // 000000011114: D1D30330 04C2974A
	v_max3_f32 v48, |v76|, |v77|, v48                          // 00000001111C: D1D30330 04C29B4C
	v_max3_f32 v48, |v78|, |v79|, v48                          // 000000011124: D1D30330 04C29F4E
	s_nop 2                                                    // 00000001112C: BF800002
	v_rcp_f32_e32 v48, v48                                     // 000000011130: 7E604530
	s_nop 1                                                    // 000000011134: BF800001
	v_mul_f32_e32 v48, 0x42fe0000, v48                         // 000000011138: 0A6060FF 42FE0000
	v_mul_f32_e32 v144, v48, v240                              // 000000011140: 0B21E130
	v_mul_f32_e32 v145, v48, v241                              // 000000011144: 0B23E330
	v_mul_f32_e32 v146, v48, v242                              // 000000011148: 0B25E530
	v_mul_f32_e32 v147, v48, v243                              // 00000001114C: 0B27E730
	v_mul_f32_e32 v148, v48, v244                              // 000000011150: 0B29E930
	v_mul_f32_e32 v149, v48, v245                              // 000000011154: 0B2BEB30
	v_mul_f32_e32 v150, v48, v246                              // 000000011158: 0B2DED30
	v_mul_f32_e32 v151, v48, v247                              // 00000001115C: 0B2FEF30
	v_mul_f32_e32 v152, v48, v248                              // 000000011160: 0B31F130
	v_mul_f32_e32 v153, v48, v249                              // 000000011164: 0B33F330
	v_mul_f32_e32 v154, v48, v250                              // 000000011168: 0B35F530
	v_mul_f32_e32 v155, v48, v251                              // 00000001116C: 0B37F730
	v_mul_f32_e32 v156, v48, v252                              // 000000011170: 0B39F930
	v_mul_f32_e32 v157, v48, v253                              // 000000011174: 0B3BFB30
	v_mul_f32_e32 v158, v48, v254                              // 000000011178: 0B3DFD30
	v_mul_f32_e32 v159, v48, v255                              // 00000001117C: 0B3FFF30
	v_cvt_i32_f32_e32 v144, v144                               // 000000011180: 7F201190
	v_cvt_i32_f32_e32 v145, v145                               // 000000011184: 7F221191
	v_cvt_i32_f32_e32 v146, v146                               // 000000011188: 7F241192
	v_cvt_i32_f32_e32 v147, v147                               // 00000001118C: 7F261193
	v_cvt_i32_f32_e32 v148, v148                               // 000000011190: 7F281194
	v_cvt_i32_f32_e32 v149, v149                               // 000000011194: 7F2A1195
	v_cvt_i32_f32_e32 v150, v150                               // 000000011198: 7F2C1196
	v_cvt_i32_f32_e32 v151, v151                               // 00000001119C: 7F2E1197
	v_cvt_i32_f32_e32 v152, v152                               // 0000000111A0: 7F301198
	v_cvt_i32_f32_e32 v153, v153                               // 0000000111A4: 7F321199
	v_cvt_i32_f32_e32 v154, v154                               // 0000000111A8: 7F34119A
	v_cvt_i32_f32_e32 v155, v155                               // 0000000111AC: 7F36119B
	v_cvt_i32_f32_e32 v156, v156                               // 0000000111B0: 7F38119C
	v_cvt_i32_f32_e32 v157, v157                               // 0000000111B4: 7F3A119D
	v_cvt_i32_f32_e32 v158, v158                               // 0000000111B8: 7F3C119E
	v_cvt_i32_f32_e32 v159, v159                               // 0000000111BC: 7F3E119F
	v_perm_b32 v144, v145, v144, s53                           // 0000000111C0: D1ED0090 00D72191
	v_perm_b32 v144, v146, v144, s54                           // 0000000111C8: D1ED0090 00DB2192
	v_perm_b32 v144, v147, v144, s55                           // 0000000111D0: D1ED0090 00DF2193
	v_perm_b32 v145, v149, v148, s53                           // 0000000111D8: D1ED0091 00D72995
	v_perm_b32 v145, v150, v145, s54                           // 0000000111E0: D1ED0091 00DB2396
	v_perm_b32 v145, v151, v145, s55                           // 0000000111E8: D1ED0091 00DF2397
	v_perm_b32 v146, v153, v152, s53                           // 0000000111F0: D1ED0092 00D73199
	v_perm_b32 v146, v154, v146, s54                           // 0000000111F8: D1ED0092 00DB259A
	v_perm_b32 v146, v155, v146, s55                           // 000000011200: D1ED0092 00DF259B
	v_perm_b32 v147, v157, v156, s53                           // 000000011208: D1ED0093 00D7399D
	v_perm_b32 v147, v158, v147, s54                           // 000000011210: D1ED0093 00DB279E
	v_perm_b32 v147, v159, v147, s55                           // 000000011218: D1ED0093 00DF279F
	ds_write_b32 v10, v144 offset:33280                        // 000000011220: D81A8200 0000900A
	ds_write_b32 v10, v145 offset:34304                        // 000000011228: D81A8600 0000910A
	ds_write_b32 v10, v146 offset:35328                        // 000000011230: D81A8A00 0000920A
	ds_write_b32 v10, v147 offset:36352                        // 000000011238: D81A8E00 0000930A
	v_add_f32_e32 v224, v224, v192                             // 000000011240: 03C181E0
	v_add_f32_e32 v225, v225, v193                             // 000000011244: 03C383E1
	v_add_f32_e32 v226, v226, v194                             // 000000011248: 03C585E2
	v_add_f32_e32 v227, v227, v195                             // 00000001124C: 03C787E3
	v_add_f32_e32 v228, v228, v196                             // 000000011250: 03C989E4
	v_add_f32_e32 v229, v229, v197                             // 000000011254: 03CB8BE5
	v_add_f32_e32 v230, v230, v198                             // 000000011258: 03CD8DE6
	v_add_f32_e32 v231, v231, v199                             // 00000001125C: 03CF8FE7
	v_rcp_f32_e32 v46, v48                                     // 000000011260: 7E5C4530
	s_waitcnt lgkmcnt(0)                                       // 000000011264: BF8CC07F
	s_barrier                                                  // 000000011268: BF8A0000
	ds_read_b64 v[144:145], v9 offset:33280                    // 00000001126C: D8EC8200 90000009
	ds_read_b64 v[146:147], v9 offset:33408                    // 000000011274: D8EC8280 92000009
	ds_read_b64 v[148:149], v9 offset:34304                    // 00000001127C: D8EC8600 94000009
	ds_read_b64 v[150:151], v9 offset:34432                    // 000000011284: D8EC8680 96000009
	ds_read_b64 v[152:153], v9 offset:35328                    // 00000001128C: D8EC8A00 98000009
	ds_read_b64 v[154:155], v9 offset:35456                    // 000000011294: D8EC8A80 9A000009
	ds_read_b64 v[156:157], v9 offset:36352                    // 00000001129C: D8EC8E00 9C000009
	ds_read_b64 v[158:159], v9 offset:36480                    // 0000000112A4: D8EC8E80 9E000009
	s_waitcnt vmcnt(15)                                        // 0000000112AC: BF8C0F7F
	v_mfma_i32_16x16x32_i8 v[176:179], a[64:65], v[112:113], 0 // 0000000112B0: D3D700B0 0A02E140
	v_mfma_i32_16x16x32_i8 v[176:179], a[66:67], v[114:115], v[176:179]// 0000000112B8: D3D700B0 0EC2E542
	buffer_load_dwordx4 a[112:115], v34, s[20:23], 0 offen offset:1024// 0000000112C0: E05C1400 80857022
	v_mfma_i32_16x16x32_i8 v[176:179], a[68:69], v[116:117], v[176:179]// 0000000112C8: D3D700B0 0EC2E944
	v_mfma_i32_16x16x32_i8 v[176:179], a[70:71], v[118:119], v[176:179]// 0000000112D0: D3D700B0 0EC2ED46
	v_mfma_i32_16x16x32_i8 v[176:179], a[72:73], v[120:121], v[176:179]// 0000000112D8: D3D700B0 0EC2F148
	v_mfma_i32_16x16x32_i8 v[176:179], a[74:75], v[122:123], v[176:179]// 0000000112E0: D3D700B0 0EC2F54A
	buffer_load_dwordx4 a[116:119], v35, s[20:23], 0 offen offset:1024// 0000000112E8: E05C1400 80857423
	v_mfma_i32_16x16x32_i8 v[176:179], a[76:77], v[124:125], v[176:179]// 0000000112F0: D3D700B0 0EC2F94C
	v_mfma_i32_16x16x32_i8 v[176:179], a[78:79], v[126:127], v[176:179]// 0000000112F8: D3D700B0 0EC2FD4E
	v_mfma_i32_16x16x32_i8 v[180:183], a[80:81], v[112:113], 0 // 000000011300: D3D700B4 0A02E150
	v_mfma_i32_16x16x32_i8 v[180:183], a[82:83], v[114:115], v[180:183]// 000000011308: D3D700B4 0ED2E552
	buffer_load_dwordx4 a[120:123], v36, s[20:23], 0 offen offset:1024// 000000011310: E05C1400 80857824
	v_mfma_i32_16x16x32_i8 v[180:183], a[84:85], v[116:117], v[180:183]// 000000011318: D3D700B4 0ED2E954
	v_mfma_i32_16x16x32_i8 v[180:183], a[86:87], v[118:119], v[180:183]// 000000011320: D3D700B4 0ED2ED56
	v_mfma_i32_16x16x32_i8 v[180:183], a[88:89], v[120:121], v[180:183]// 000000011328: D3D700B4 0ED2F158
	v_mfma_i32_16x16x32_i8 v[180:183], a[90:91], v[122:123], v[180:183]// 000000011330: D3D700B4 0ED2F55A
	buffer_load_dwordx4 a[124:127], v37, s[20:23], 0 offen offset:1024// 000000011338: E05C1400 80857C25
	v_mfma_i32_16x16x32_i8 v[180:183], a[92:93], v[124:125], v[180:183]// 000000011340: D3D700B4 0ED2F95C
	s_lshr_b32 s57, s70, 4                                     // 000000011348: 8F398446
	s_add_u32 s57, 48, s57                                     // 00000001134C: 803939B0
	v_mfma_i32_16x16x32_i8 v[180:183], a[94:95], v[126:127], v[180:183]// 000000011350: D3D700B4 0ED2FD5E
	s_cmp_ge_u32 s57, s73                                      // 000000011358: BF094939
	s_cselect_b32 s56, 0, s56                                  // 00000001135C: 85383880
	v_mfma_i32_16x16x32_i8 v[184:187], a[64:65], v[128:129], 0 // 000000011360: D3D700B8 0A030140
	v_mfma_i32_16x16x32_i8 v[184:187], a[66:67], v[130:131], v[184:187]// 000000011368: D3D700B8 0EE30542
	v_mfma_i32_16x16x32_i8 v[184:187], a[68:69], v[132:133], v[184:187]// 000000011370: D3D700B8 0EE30944
	v_mfma_i32_16x16x32_i8 v[184:187], a[70:71], v[134:135], v[184:187]// 000000011378: D3D700B8 0EE30D46
	v_mfma_i32_16x16x32_i8 v[184:187], a[72:73], v[136:137], v[184:187]// 000000011380: D3D700B8 0EE31148
	v_mfma_i32_16x16x32_i8 v[184:187], a[74:75], v[138:139], v[184:187]// 000000011388: D3D700B8 0EE3154A
	v_mfma_i32_16x16x32_i8 v[184:187], a[76:77], v[140:141], v[184:187]// 000000011390: D3D700B8 0EE3194C
	v_mfma_i32_16x16x32_i8 v[184:187], a[78:79], v[142:143], v[184:187]// 000000011398: D3D700B8 0EE31D4E
	v_mfma_i32_16x16x32_i8 v[188:191], a[80:81], v[128:129], 0 // 0000000113A0: D3D700BC 0A030150
	v_mfma_i32_16x16x32_i8 v[188:191], a[82:83], v[130:131], v[188:191]// 0000000113A8: D3D700BC 0EF30552
	v_mfma_i32_16x16x32_i8 v[188:191], a[84:85], v[132:133], v[188:191]// 0000000113B0: D3D700BC 0EF30954
	v_mfma_i32_16x16x32_i8 v[188:191], a[86:87], v[134:135], v[188:191]// 0000000113B8: D3D700BC 0EF30D56
	v_mfma_i32_16x16x32_i8 v[188:191], a[88:89], v[136:137], v[188:191]// 0000000113C0: D3D700BC 0EF31158
	v_mfma_i32_16x16x32_i8 v[188:191], a[90:91], v[138:139], v[188:191]// 0000000113C8: D3D700BC 0EF3155A
	v_mfma_i32_16x16x32_i8 v[188:191], a[92:93], v[140:141], v[188:191]// 0000000113D0: D3D700BC 0EF3195C
	v_mfma_i32_16x16x32_i8 v[188:191], a[94:95], v[142:143], v[188:191]// 0000000113D8: D3D700BC 0EF31D5E
	v_mfma_i32_16x16x32_i8 v[192:195], a[64:65], v[144:145], 0 // 0000000113E0: D3D700C0 0A032140
	v_mfma_i32_16x16x32_i8 v[192:195], a[66:67], v[146:147], v[192:195]// 0000000113E8: D3D700C0 0F032542
	v_mfma_i32_16x16x32_i8 v[192:195], a[68:69], v[148:149], v[192:195]// 0000000113F0: D3D700C0 0F032944
	v_mfma_i32_16x16x32_i8 v[192:195], a[70:71], v[150:151], v[192:195]// 0000000113F8: D3D700C0 0F032D46
	v_mfma_i32_16x16x32_i8 v[192:195], a[72:73], v[152:153], v[192:195]// 000000011400: D3D700C0 0F033148
	v_mfma_i32_16x16x32_i8 v[192:195], a[74:75], v[154:155], v[192:195]// 000000011408: D3D700C0 0F03354A
	v_mfma_i32_16x16x32_i8 v[192:195], a[76:77], v[156:157], v[192:195]// 000000011410: D3D700C0 0F03394C
	v_mfma_i32_16x16x32_i8 v[192:195], a[78:79], v[158:159], v[192:195]// 000000011418: D3D700C0 0F033D4E
	v_mfma_i32_16x16x32_i8 v[196:199], a[80:81], v[144:145], 0 // 000000011420: D3D700C4 0A032150
	v_mfma_i32_16x16x32_i8 v[196:199], a[82:83], v[146:147], v[196:199]// 000000011428: D3D700C4 0F132552
	v_mfma_i32_16x16x32_i8 v[196:199], a[84:85], v[148:149], v[196:199]// 000000011430: D3D700C4 0F132954
	v_mfma_i32_16x16x32_i8 v[196:199], a[86:87], v[150:151], v[196:199]// 000000011438: D3D700C4 0F132D56
	v_mfma_i32_16x16x32_i8 v[196:199], a[88:89], v[152:153], v[196:199]// 000000011440: D3D700C4 0F133158
	v_mfma_i32_16x16x32_i8 v[196:199], a[90:91], v[154:155], v[196:199]// 000000011448: D3D700C4 0F13355A
	v_mfma_i32_16x16x32_i8 v[196:199], a[92:93], v[156:157], v[196:199]// 000000011450: D3D700C4 0F13395C
	v_mfma_i32_16x16x32_i8 v[196:199], a[94:95], v[158:159], v[196:199]// 000000011458: D3D700C4 0F133D5E
	v_add_u32_e32 v1, s56, v1                                  // 000000011460: 68020238
	s_addk_i32 s70, 0x100                                      // 000000011464: B7460100
	s_cmp_lt_i32 s70, s71                                      // 000000011468: BF044746
	s_cbranch_scc0 label_4363                                  // 00000001146C: BF8406C7
	s_waitcnt vmcnt(8) lgkmcnt(0)                              // 000000011470: BF8C0078
	v_mul_u32_u24_dpp v64, v16, v54 row_newbcast:0 row_mask:0xf bank_mask:0xf// 000000011474: 10806CFA FF015010
	v_mul_u32_u24_dpp v65, v16, v54 row_newbcast:4 row_mask:0xf bank_mask:0xf// 00000001147C: 10826CFA FF015410
	v_mul_u32_u24_dpp v66, v16, v54 row_newbcast:8 row_mask:0xf bank_mask:0xf// 000000011484: 10846CFA FF015810
	v_mul_u32_u24_dpp v67, v16, v54 row_newbcast:12 row_mask:0xf bank_mask:0xf// 00000001148C: 10866CFA FF015C10
	v_add_u32_e32 v22, v64, v5                                 // 000000011494: 682C0B40
	v_add_u32_e32 v23, v65, v5                                 // 000000011498: 682E0B41
	v_add_u32_e32 v24, v66, v5                                 // 00000001149C: 68300B42
	v_add_u32_e32 v25, v67, v5                                 // 0000000114A0: 68320B43
	v_mul_u32_u24_dpp v64, v16, v63 quad_perm:[0,0,0,0] row_mask:0xf bank_mask:0xf// 0000000114A4: 10807EFA FF000010
	v_add_u32_e32 v2, v64, v59                                 // 0000000114AC: 68047740
	v_mul_u32_u24_dpp v64, v16, v63 quad_perm:[0,0,0,0] row_mask:0xf bank_mask:0xf// 0000000114B0: 10807EFA FF000010
	v_add_u32_e32 v55, v64, v60                                // 0000000114B8: 686E7940
	v_mfma_i32_16x16x32_i8 v[112:115], a[32:33], v[80:81], 0   // 0000000114BC: D3D70070 0A02A120
	v_mfma_i32_16x16x32_i8 v[112:115], a[34:35], v[82:83], v[112:115]// 0000000114C4: D3D70070 0DC2A522
	buffer_load_dwordx4 a[0:3], v22, s[16:19], 0 offen         // 0000000114CC: E05C1000 80840016
	v_mfma_i32_16x16x32_i8 v[112:115], a[36:37], v[84:85], v[112:115]// 0000000114D4: D3D70070 0DC2A924
	v_mfma_i32_16x16x32_i8 v[112:115], a[38:39], v[86:87], v[112:115]// 0000000114DC: D3D70070 0DC2AD26
	buffer_load_dword v17, v1, s[24:27], 0 offen               // 0000000114E4: E0501000 80061101
	v_mfma_i32_16x16x32_i8 v[116:119], a[40:41], v[80:81], 0   // 0000000114EC: D3D70074 0A02A128
	v_mfma_i32_16x16x32_i8 v[116:119], a[42:43], v[82:83], v[116:119]// 0000000114F4: D3D70074 0DD2A52A
	buffer_load_dwordx4 a[4:7], v22, s[16:19], 0 offen offset:1024// 0000000114FC: E05C1400 80840416
	v_mfma_i32_16x16x32_i8 v[116:119], a[44:45], v[84:85], v[116:119]// 000000011504: D3D70074 0DD2A92C
	v_mfma_i32_16x16x32_i8 v[116:119], a[46:47], v[86:87], v[116:119]// 00000001150C: D3D70074 0DD2AD2E
	v_mfma_i32_16x16x32_i8 v[120:123], a[48:49], v[80:81], 0   // 000000011514: D3D70078 0A02A130
	v_mfma_i32_16x16x32_i8 v[120:123], a[50:51], v[82:83], v[120:123]// 00000001151C: D3D70078 0DE2A532
	buffer_load_dwordx4 a[8:11], v23, s[16:19], 0 offen        // 000000011524: E05C1000 80840817
	v_mfma_i32_16x16x32_i8 v[120:123], a[52:53], v[84:85], v[120:123]// 00000001152C: D3D70078 0DE2A934
	v_mfma_i32_16x16x32_i8 v[120:123], a[54:55], v[86:87], v[120:123]// 000000011534: D3D70078 0DE2AD36
	v_mfma_i32_16x16x32_i8 v[124:127], a[56:57], v[80:81], 0   // 00000001153C: D3D7007C 0A02A138
	v_mfma_i32_16x16x32_i8 v[124:127], a[58:59], v[82:83], v[124:127]// 000000011544: D3D7007C 0DF2A53A
	buffer_load_dwordx4 a[12:15], v23, s[16:19], 0 offen offset:1024// 00000001154C: E05C1400 80840C17
	v_mfma_i32_16x16x32_i8 v[124:127], a[60:61], v[84:85], v[124:127]// 000000011554: D3D7007C 0DF2A93C
	v_mfma_i32_16x16x32_i8 v[124:127], a[62:63], v[86:87], v[124:127]// 00000001155C: D3D7007C 0DF2AD3E
	v_mfma_i32_16x16x32_i8 v[128:131], a[32:33], v[88:89], 0   // 000000011564: D3D70080 0A02B120
	v_mfma_i32_16x16x32_i8 v[128:131], a[34:35], v[90:91], v[128:131]// 00000001156C: D3D70080 0E02B522
	v_mfma_i32_16x16x32_i8 v[128:131], a[36:37], v[92:93], v[128:131]// 000000011574: D3D70080 0E02B924
	v_mfma_i32_16x16x32_i8 v[128:131], a[38:39], v[94:95], v[128:131]// 00000001157C: D3D70080 0E02BD26
	v_mfma_i32_16x16x32_i8 v[132:135], a[40:41], v[88:89], 0   // 000000011584: D3D70084 0A02B128
	v_mfma_i32_16x16x32_i8 v[132:135], a[42:43], v[90:91], v[132:135]// 00000001158C: D3D70084 0E12B52A
	v_mfma_i32_16x16x32_i8 v[132:135], a[44:45], v[92:93], v[132:135]// 000000011594: D3D70084 0E12B92C
	v_mfma_i32_16x16x32_i8 v[132:135], a[46:47], v[94:95], v[132:135]// 00000001159C: D3D70084 0E12BD2E
	v_mfma_i32_16x16x32_i8 v[136:139], a[48:49], v[88:89], 0   // 0000000115A4: D3D70088 0A02B130
	v_mfma_i32_16x16x32_i8 v[136:139], a[50:51], v[90:91], v[136:139]// 0000000115AC: D3D70088 0E22B532
	v_mfma_i32_16x16x32_i8 v[136:139], a[52:53], v[92:93], v[136:139]// 0000000115B4: D3D70088 0E22B934
	v_mfma_i32_16x16x32_i8 v[136:139], a[54:55], v[94:95], v[136:139]// 0000000115BC: D3D70088 0E22BD36
	v_mfma_i32_16x16x32_i8 v[140:143], a[56:57], v[88:89], 0   // 0000000115C4: D3D7008C 0A02B138
	v_mfma_i32_16x16x32_i8 v[140:143], a[58:59], v[90:91], v[140:143]// 0000000115CC: D3D7008C 0E32B53A
	v_mfma_i32_16x16x32_i8 v[140:143], a[60:61], v[92:93], v[140:143]// 0000000115D4: D3D7008C 0E32B93C
	v_mfma_i32_16x16x32_i8 v[140:143], a[62:63], v[94:95], v[140:143]// 0000000115DC: D3D7008C 0E32BD3E
	v_mfma_i32_16x16x32_i8 v[144:147], a[32:33], v[96:97], 0   // 0000000115E4: D3D70090 0A02C120
	v_mfma_i32_16x16x32_i8 v[144:147], a[34:35], v[98:99], v[144:147]// 0000000115EC: D3D70090 0E42C522
	v_mfma_i32_16x16x32_i8 v[144:147], a[36:37], v[100:101], v[144:147]// 0000000115F4: D3D70090 0E42C924
	v_mfma_i32_16x16x32_i8 v[144:147], a[38:39], v[102:103], v[144:147]// 0000000115FC: D3D70090 0E42CD26
	v_mfma_i32_16x16x32_i8 v[148:151], a[40:41], v[96:97], 0   // 000000011604: D3D70094 0A02C128
	v_mfma_i32_16x16x32_i8 v[148:151], a[42:43], v[98:99], v[148:151]// 00000001160C: D3D70094 0E52C52A
	v_mfma_i32_16x16x32_i8 v[148:151], a[44:45], v[100:101], v[148:151]// 000000011614: D3D70094 0E52C92C
	v_mfma_i32_16x16x32_i8 v[148:151], a[46:47], v[102:103], v[148:151]// 00000001161C: D3D70094 0E52CD2E
	v_mfma_i32_16x16x32_i8 v[152:155], a[48:49], v[96:97], 0   // 000000011624: D3D70098 0A02C130
	v_mfma_i32_16x16x32_i8 v[152:155], a[50:51], v[98:99], v[152:155]// 00000001162C: D3D70098 0E62C532
	v_mfma_i32_16x16x32_i8 v[152:155], a[52:53], v[100:101], v[152:155]// 000000011634: D3D70098 0E62C934
	v_mfma_i32_16x16x32_i8 v[152:155], a[54:55], v[102:103], v[152:155]// 00000001163C: D3D70098 0E62CD36
	v_mfma_i32_16x16x32_i8 v[156:159], a[56:57], v[96:97], 0   // 000000011644: D3D7009C 0A02C138
	v_mfma_i32_16x16x32_i8 v[156:159], a[58:59], v[98:99], v[156:159]// 00000001164C: D3D7009C 0E72C53A
	v_mfma_i32_16x16x32_i8 v[156:159], a[60:61], v[100:101], v[156:159]// 000000011654: D3D7009C 0E72C93C
	v_mfma_i32_16x16x32_i8 v[156:159], a[62:63], v[102:103], v[156:159]// 00000001165C: D3D7009C 0E72CD3E
	buffer_load_dword v42, v2, s[32:35], 0 offen               // 000000011664: E0501000 80082A02
	v_mov_b32_dpp v64, v43 row_shr:4 row_mask:0xf bank_mask:0xf// 00000001166C: 7E8002FA FF01142B
	v_mov_b32_dpp v65, v43 row_shl:4 row_mask:0xf bank_mask:0xf// 000000011674: 7E8202FA FF01042B
	v_cndmask_b32_e64 v248, v43, v64, s[44:45]                 // 00000001167C: D10000F8 00B2812B
	v_cndmask_b32_e64 v249, v65, v43, s[44:45]                 // 000000011684: D10000F9 00B25741
	v_mov_b32_dpp v64, v248 row_shr:8 row_mask:0xf bank_mask:0xf// 00000001168C: 7E8002FA FF0118F8
	v_mov_b32_dpp v65, v248 row_shl:8 row_mask:0xf bank_mask:0xf// 000000011694: 7E8202FA FF0108F8
	v_mov_b32_dpp v66, v249 row_shr:8 row_mask:0xf bank_mask:0xf// 00000001169C: 7E8402FA FF0118F9
	v_mov_b32_dpp v67, v249 row_shl:8 row_mask:0xf bank_mask:0xf// 0000000116A4: 7E8602FA FF0108F9
	v_mov_b32_e32 v68, v248                                    // 0000000116AC: 7E8803F8
	v_mov_b32_e32 v69, v249                                    // 0000000116B0: 7E8A03F9
	v_cndmask_b32_e64 v248, v68, v64, s[42:43]                 // 0000000116B4: D10000F8 00AA8144
	v_cndmask_b32_e64 v250, v68, v65, s[78:79]                 // 0000000116BC: D10000FA 013A8344
	v_cndmask_b32_e64 v249, v69, v66, s[42:43]                 // 0000000116C4: D10000F9 00AA8545
	v_cndmask_b32_e64 v251, v69, v67, s[78:79]                 // 0000000116CC: D10000FB 013A8745
	v_mov_b32_dpp v64, v58 row_shr:4 row_mask:0xf bank_mask:0xf// 0000000116D4: 7E8002FA FF01143A
	v_mov_b32_dpp v65, v58 row_shl:4 row_mask:0xf bank_mask:0xf// 0000000116DC: 7E8202FA FF01043A
	v_cndmask_b32_e64 v252, v58, v64, s[44:45]                 // 0000000116E4: D10000FC 00B2813A
	v_cndmask_b32_e64 v253, v65, v58, s[44:45]                 // 0000000116EC: D10000FD 00B27541
	v_mov_b32_dpp v64, v252 row_shr:8 row_mask:0xf bank_mask:0xf// 0000000116F4: 7E8002FA FF0118FC
	v_mov_b32_dpp v65, v252 row_shl:8 row_mask:0xf bank_mask:0xf// 0000000116FC: 7E8202FA FF0108FC
	v_mov_b32_dpp v66, v253 row_shr:8 row_mask:0xf bank_mask:0xf// 000000011704: 7E8402FA FF0118FD
	v_mov_b32_dpp v67, v253 row_shl:8 row_mask:0xf bank_mask:0xf// 00000001170C: 7E8602FA FF0108FD
	v_mov_b32_e32 v68, v252                                    // 000000011714: 7E8803FC
	v_mov_b32_e32 v69, v253                                    // 000000011718: 7E8A03FD
	v_cndmask_b32_e64 v252, v68, v64, s[42:43]                 // 00000001171C: D10000FC 00AA8144
	v_cndmask_b32_e64 v254, v68, v65, s[78:79]                 // 000000011724: D10000FE 013A8344
	v_cndmask_b32_e64 v253, v69, v66, s[42:43]                 // 00000001172C: D10000FD 00AA8545
	v_cndmask_b32_e64 v255, v69, v67, s[78:79]                 // 000000011734: D10000FF 013A8745
	buffer_load_dword v57, v55, s[36:39], 0 offen              // 00000001173C: E0501000 80093937
	v_cvt_f32_i32_e32 v112, v112                               // 000000011744: 7EE00B70
	v_cvt_f32_i32_e32 v113, v113                               // 000000011748: 7EE20B71
	v_cvt_f32_i32_e32 v114, v114                               // 00000001174C: 7EE40B72
	v_cvt_f32_i32_e32 v115, v115                               // 000000011750: 7EE60B73
	v_cvt_f32_i32_e32 v116, v116                               // 000000011754: 7EE80B74
	v_cvt_f32_i32_e32 v117, v117                               // 000000011758: 7EEA0B75
	v_cvt_f32_i32_e32 v118, v118                               // 00000001175C: 7EEC0B76
	v_cvt_f32_i32_e32 v119, v119                               // 000000011760: 7EEE0B77
	v_cvt_f32_i32_e32 v120, v120                               // 000000011764: 7EF00B78
	v_cvt_f32_i32_e32 v121, v121                               // 000000011768: 7EF20B79
	v_cvt_f32_i32_e32 v122, v122                               // 00000001176C: 7EF40B7A
	v_cvt_f32_i32_e32 v123, v123                               // 000000011770: 7EF60B7B
	v_cvt_f32_i32_e32 v124, v124                               // 000000011774: 7EF80B7C
	v_cvt_f32_i32_e32 v125, v125                               // 000000011778: 7EFA0B7D
	v_cvt_f32_i32_e32 v126, v126                               // 00000001177C: 7EFC0B7E
	v_cvt_f32_i32_e32 v127, v127                               // 000000011780: 7EFE0B7F
	v_mul_f32_e32 v112, v18, v112                              // 000000011784: 0AE0E112
	v_mul_f32_e32 v113, v18, v113                              // 000000011788: 0AE2E312
	v_mul_f32_e32 v114, v18, v114                              // 00000001178C: 0AE4E512
	v_mul_f32_e32 v115, v18, v115                              // 000000011790: 0AE6E712
	v_mul_f32_e32 v116, v18, v116                              // 000000011794: 0AE8E912
	v_mul_f32_e32 v117, v18, v117                              // 000000011798: 0AEAEB12
	v_mul_f32_e32 v118, v18, v118                              // 00000001179C: 0AECED12
	v_mul_f32_e32 v119, v18, v119                              // 0000000117A0: 0AEEEF12
	v_mul_f32_e32 v120, v18, v120                              // 0000000117A4: 0AF0F112
	v_mul_f32_e32 v121, v18, v121                              // 0000000117A8: 0AF2F312
	v_mul_f32_e32 v122, v18, v122                              // 0000000117AC: 0AF4F512
	v_mul_f32_e32 v123, v18, v123                              // 0000000117B0: 0AF6F712
	v_mul_f32_e32 v124, v18, v124                              // 0000000117B4: 0AF8F912
	v_mul_f32_e32 v125, v18, v125                              // 0000000117B8: 0AFAFB12
	v_mul_f32_e32 v126, v18, v126                              // 0000000117BC: 0AFCFD12
	v_mul_f32_e32 v127, v18, v127                              // 0000000117C0: 0AFEFF12
	buffer_load_dwordx4 a[16:19], v24, s[16:19], 0 offen       // 0000000117C4: E05C1000 80841018
	v_mul_f32_dpp v112, v248, v112 quad_perm:[0,0,0,0] row_mask:0xf bank_mask:0xf// 0000000117CC: 0AE0E0FA FF0000F8
	v_mul_f32_dpp v113, v248, v113 quad_perm:[1,1,1,1] row_mask:0xf bank_mask:0xf// 0000000117D4: 0AE2E2FA FF0055F8
	v_mul_f32_dpp v114, v248, v114 quad_perm:[2,2,2,2] row_mask:0xf bank_mask:0xf// 0000000117DC: 0AE4E4FA FF00AAF8
	v_mul_f32_dpp v115, v248, v115 quad_perm:[3,3,3,3] row_mask:0xf bank_mask:0xf// 0000000117E4: 0AE6E6FA FF00FFF8
	v_mul_f32_dpp v116, v249, v116 quad_perm:[0,0,0,0] row_mask:0xf bank_mask:0xf// 0000000117EC: 0AE8E8FA FF0000F9
	v_mul_f32_dpp v117, v249, v117 quad_perm:[1,1,1,1] row_mask:0xf bank_mask:0xf// 0000000117F4: 0AEAEAFA FF0055F9
	v_mul_f32_dpp v118, v249, v118 quad_perm:[2,2,2,2] row_mask:0xf bank_mask:0xf// 0000000117FC: 0AECECFA FF00AAF9
	v_mul_f32_dpp v119, v249, v119 quad_perm:[3,3,3,3] row_mask:0xf bank_mask:0xf// 000000011804: 0AEEEEFA FF00FFF9
	v_mul_f32_dpp v120, v250, v120 quad_perm:[0,0,0,0] row_mask:0xf bank_mask:0xf// 00000001180C: 0AF0F0FA FF0000FA
	v_mul_f32_dpp v121, v250, v121 quad_perm:[1,1,1,1] row_mask:0xf bank_mask:0xf// 000000011814: 0AF2F2FA FF0055FA
	v_mul_f32_dpp v122, v250, v122 quad_perm:[2,2,2,2] row_mask:0xf bank_mask:0xf// 00000001181C: 0AF4F4FA FF00AAFA
	v_mul_f32_dpp v123, v250, v123 quad_perm:[3,3,3,3] row_mask:0xf bank_mask:0xf// 000000011824: 0AF6F6FA FF00FFFA
	v_mul_f32_dpp v124, v251, v124 quad_perm:[0,0,0,0] row_mask:0xf bank_mask:0xf// 00000001182C: 0AF8F8FA FF0000FB
	v_mul_f32_dpp v125, v251, v125 quad_perm:[1,1,1,1] row_mask:0xf bank_mask:0xf// 000000011834: 0AFAFAFA FF0055FB
	v_mul_f32_dpp v126, v251, v126 quad_perm:[2,2,2,2] row_mask:0xf bank_mask:0xf// 00000001183C: 0AFCFCFA FF00AAFB
	v_mul_f32_dpp v127, v251, v127 quad_perm:[3,3,3,3] row_mask:0xf bank_mask:0xf// 000000011844: 0AFEFEFA FF00FFFB
	buffer_load_dwordx4 a[20:23], v24, s[16:19], 0 offen offset:1024// 00000001184C: E05C1400 80841418
	v_mov_b32_e32 v48, v112                                    // 000000011854: 7E600370
	v_max3_f32 v48, v112, v113, v48                            // 000000011858: D1D30030 04C2E370
	v_max3_f32 v48, v114, v115, v48                            // 000000011860: D1D30030 04C2E772
	v_max3_f32 v48, v116, v117, v48                            // 000000011868: D1D30030 04C2EB74
	v_max3_f32 v48, v118, v119, v48                            // 000000011870: D1D30030 04C2EF76
	v_max3_f32 v48, v120, v121, v48                            // 000000011878: D1D30030 04C2F378
	v_max3_f32 v48, v122, v123, v48                            // 000000011880: D1D30030 04C2F77A
	v_max3_f32 v48, v124, v125, v48                            // 000000011888: D1D30030 04C2FB7C
	v_max3_f32 v48, v126, v127, v48                            // 000000011890: D1D30030 04C2FF7E
	ds_write_b32 v8, v48 offset:16896                          // 000000011898: D81A4200 00003008
	buffer_load_dwordx4 a[24:27], v25, s[16:19], 0 offen       // 0000000118A0: E05C1000 80841819
	v_mul_u32_u24_dpp v64, v16, v54 row_newbcast:1 row_mask:0xf bank_mask:0xf// 0000000118A8: 10806CFA FF015110
	v_mul_u32_u24_dpp v65, v16, v54 row_newbcast:5 row_mask:0xf bank_mask:0xf// 0000000118B0: 10826CFA FF015510
	v_mul_u32_u24_dpp v66, v16, v54 row_newbcast:9 row_mask:0xf bank_mask:0xf// 0000000118B8: 10846CFA FF015910
	v_mul_u32_u24_dpp v67, v16, v54 row_newbcast:13 row_mask:0xf bank_mask:0xf// 0000000118C0: 10866CFA FF015D10
	v_add_u32_e32 v30, v64, v6                                 // 0000000118C8: 683C0D40
	v_add_u32_e32 v31, v65, v6                                 // 0000000118CC: 683E0D41
	v_add_u32_e32 v32, v66, v6                                 // 0000000118D0: 68400D42
	v_add_u32_e32 v33, v67, v6                                 // 0000000118D4: 68420D43
	v_mul_f32_e32 v208, v49, v208                              // 0000000118D8: 0BA1A131
	v_mul_f32_e32 v209, v49, v209                              // 0000000118DC: 0BA3A331
	v_mul_f32_e32 v210, v49, v210                              // 0000000118E0: 0BA5A531
	v_mul_f32_e32 v211, v49, v211                              // 0000000118E4: 0BA7A731
	v_mul_f32_e32 v212, v49, v212                              // 0000000118E8: 0BA9A931
	v_mul_f32_e32 v213, v49, v213                              // 0000000118EC: 0BABAB31
	v_mul_f32_e32 v214, v49, v214                              // 0000000118F0: 0BADAD31
	v_mul_f32_e32 v215, v49, v215                              // 0000000118F4: 0BAFAF31
	s_waitcnt lgkmcnt(0)                                       // 0000000118F8: BF8CC07F
	s_barrier                                                  // 0000000118FC: BF8A0000
	ds_read_b32 v64, v7 offset:16896                           // 000000011900: D86C4200 40000007
	ds_read_b32 v65, v7 offset:16960                           // 000000011908: D86C4240 41000007
	ds_read_b32 v66, v7 offset:17024                           // 000000011910: D86C4280 42000007
	ds_read_b32 v67, v7 offset:17088                           // 000000011918: D86C42C0 43000007
	ds_read_b32 v68, v7 offset:17152                           // 000000011920: D86C4300 44000007
	ds_read_b32 v69, v7 offset:17216                           // 000000011928: D86C4340 45000007
	ds_read_b32 v70, v7 offset:17280                           // 000000011930: D86C4380 46000007
	ds_read_b32 v71, v7 offset:17344                           // 000000011938: D86C43C0 47000007
	ds_read_b32 v72, v7 offset:17408                           // 000000011940: D86C4400 48000007
	ds_read_b32 v73, v7 offset:17472                           // 000000011948: D86C4440 49000007
	ds_read_b32 v74, v7 offset:17536                           // 000000011950: D86C4480 4A000007
	ds_read_b32 v75, v7 offset:17600                           // 000000011958: D86C44C0 4B000007
	ds_read_b32 v76, v7 offset:17664                           // 000000011960: D86C4500 4C000007
	ds_read_b32 v77, v7 offset:17728                           // 000000011968: D86C4540 4D000007
	ds_read_b32 v78, v7 offset:17792                           // 000000011970: D86C4580 4E000007
	ds_read_b32 v79, v7 offset:17856                           // 000000011978: D86C45C0 4F000007
	buffer_load_dwordx4 a[28:31], v25, s[16:19], 0 offen offset:1024// 000000011980: E05C1400 80841C19
	v_cvt_f32_i32_e32 v176, v176                               // 000000011988: 7F600BB0
	v_cvt_f32_i32_e32 v177, v177                               // 00000001198C: 7F620BB1
	v_cvt_f32_i32_e32 v178, v178                               // 000000011990: 7F640BB2
	v_cvt_f32_i32_e32 v179, v179                               // 000000011994: 7F660BB3
	v_cvt_f32_i32_e32 v180, v180                               // 000000011998: 7F680BB4
	v_cvt_f32_i32_e32 v181, v181                               // 00000001199C: 7F6A0BB5
	v_cvt_f32_i32_e32 v182, v182                               // 0000000119A0: 7F6C0BB6
	v_cvt_f32_i32_e32 v183, v183                               // 0000000119A4: 7F6E0BB7
	v_mul_f32_e32 v176, v44, v176                              // 0000000119A8: 0B61612C
	v_mul_f32_e32 v177, v44, v177                              // 0000000119AC: 0B63632C
	v_mul_f32_e32 v178, v44, v178                              // 0000000119B0: 0B65652C
	v_mul_f32_e32 v179, v44, v179                              // 0000000119B4: 0B67672C
	v_mul_f32_e32 v180, v44, v180                              // 0000000119B8: 0B69692C
	v_mul_f32_e32 v181, v44, v181                              // 0000000119BC: 0B6B6B2C
	v_mul_f32_e32 v182, v44, v182                              // 0000000119C0: 0B6D6D2C
	v_mul_f32_e32 v183, v44, v183                              // 0000000119C4: 0B6F6F2C
	s_waitcnt lgkmcnt(0)                                       // 0000000119C8: BF8CC07F
	v_max3_f32 v48, v64, v65, v48                              // 0000000119CC: D1D30030 04C28340
	v_max3_f32 v48, v66, v67, v48                              // 0000000119D4: D1D30030 04C28742
	v_max3_f32 v48, v68, v69, v48                              // 0000000119DC: D1D30030 04C28B44
	v_max3_f32 v48, v70, v71, v48                              // 0000000119E4: D1D30030 04C28F46
	v_max3_f32 v48, v72, v73, v48                              // 0000000119EC: D1D30030 04C29348
	v_max3_f32 v48, v74, v75, v48                              // 0000000119F4: D1D30030 04C2974A
	v_max3_f32 v48, v76, v77, v48                              // 0000000119FC: D1D30030 04C29B4C
	v_max3_f32 v48, v78, v79, v48                              // 000000011A04: D1D30030 04C29F4E
	buffer_load_dwordx4 a[64:67], v30, s[20:23], 0 offen       // 000000011A0C: E05C1000 8085401E
	v_mov_b32_e32 v64, 0xff800000                              // 000000011A14: 7E8002FF FF800000
	v_cmp_eq_u32_e64 s[40:41], v64, v11                        // 000000011A1C: D0CA0028 00021740
	s_nop 1                                                    // 000000011A24: BF800001
	v_max_f32_e32 v15, v48, v11                                // 000000011A28: 161E1730
	v_mul_f32_e32 v53, s64, v15                                // 000000011A2C: 0A6A1E40
	v_fma_f32 v112, v112, s64, -v53                            // 000000011A30: D1CB0070 84D48170
	v_fma_f32 v113, v113, s64, -v53                            // 000000011A38: D1CB0071 84D48171
	v_fma_f32 v114, v114, s64, -v53                            // 000000011A40: D1CB0072 84D48172
	v_fma_f32 v115, v115, s64, -v53                            // 000000011A48: D1CB0073 84D48173
	v_fma_f32 v116, v116, s64, -v53                            // 000000011A50: D1CB0074 84D48174
	v_fma_f32 v117, v117, s64, -v53                            // 000000011A58: D1CB0075 84D48175
	v_fma_f32 v118, v118, s64, -v53                            // 000000011A60: D1CB0076 84D48176
	v_fma_f32 v119, v119, s64, -v53                            // 000000011A68: D1CB0077 84D48177
	v_fma_f32 v120, v120, s64, -v53                            // 000000011A70: D1CB0078 84D48178
	v_fma_f32 v121, v121, s64, -v53                            // 000000011A78: D1CB0079 84D48179
	v_fma_f32 v122, v122, s64, -v53                            // 000000011A80: D1CB007A 84D4817A
	v_fma_f32 v123, v123, s64, -v53                            // 000000011A88: D1CB007B 84D4817B
	v_fma_f32 v124, v124, s64, -v53                            // 000000011A90: D1CB007C 84D4817C
	v_fma_f32 v125, v125, s64, -v53                            // 000000011A98: D1CB007D 84D4817D
	v_fma_f32 v126, v126, s64, -v53                            // 000000011AA0: D1CB007E 84D4817E
	v_fma_f32 v127, v127, s64, -v53                            // 000000011AA8: D1CB007F 84D4817F
	buffer_load_dwordx4 a[68:71], v31, s[20:23], 0 offen       // 000000011AB0: E05C1000 8085441F
	v_exp_f32_e32 v112, v112                                   // 000000011AB8: 7EE04170
	v_exp_f32_e32 v113, v113                                   // 000000011ABC: 7EE24171
	v_exp_f32_e32 v114, v114                                   // 000000011AC0: 7EE44172
	v_exp_f32_e32 v115, v115                                   // 000000011AC4: 7EE64173
	v_exp_f32_e32 v116, v116                                   // 000000011AC8: 7EE84174
	v_exp_f32_e32 v117, v117                                   // 000000011ACC: 7EEA4175
	v_exp_f32_e32 v118, v118                                   // 000000011AD0: 7EEC4176
	v_exp_f32_e32 v119, v119                                   // 000000011AD4: 7EEE4177
	v_exp_f32_e32 v120, v120                                   // 000000011AD8: 7EF04178
	v_exp_f32_e32 v121, v121                                   // 000000011ADC: 7EF24179
	v_exp_f32_e32 v122, v122                                   // 000000011AE0: 7EF4417A
	v_exp_f32_e32 v123, v123                                   // 000000011AE4: 7EF6417B
	v_exp_f32_e32 v124, v124                                   // 000000011AE8: 7EF8417C
	v_exp_f32_e32 v125, v125                                   // 000000011AEC: 7EFA417D
	v_exp_f32_e32 v126, v126                                   // 000000011AF0: 7EFC417E
	v_exp_f32_e32 v127, v127                                   // 000000011AF4: 7EFE417F
	buffer_load_dwordx4 a[72:75], v32, s[20:23], 0 offen       // 000000011AF8: E05C1000 80854820
	v_mul_f32_dpp v240, v252, v112 quad_perm:[0,0,0,0] row_mask:0xf bank_mask:0xf// 000000011B00: 0BE0E0FA FF0000FC
	v_mul_f32_dpp v241, v252, v113 quad_perm:[1,1,1,1] row_mask:0xf bank_mask:0xf// 000000011B08: 0BE2E2FA FF0055FC
	v_mul_f32_dpp v242, v252, v114 quad_perm:[2,2,2,2] row_mask:0xf bank_mask:0xf// 000000011B10: 0BE4E4FA FF00AAFC
	v_mul_f32_dpp v243, v252, v115 quad_perm:[3,3,3,3] row_mask:0xf bank_mask:0xf// 000000011B18: 0BE6E6FA FF00FFFC
	v_mul_f32_dpp v244, v253, v116 quad_perm:[0,0,0,0] row_mask:0xf bank_mask:0xf// 000000011B20: 0BE8E8FA FF0000FD
	v_mul_f32_dpp v245, v253, v117 quad_perm:[1,1,1,1] row_mask:0xf bank_mask:0xf// 000000011B28: 0BEAEAFA FF0055FD
	v_mul_f32_dpp v246, v253, v118 quad_perm:[2,2,2,2] row_mask:0xf bank_mask:0xf// 000000011B30: 0BECECFA FF00AAFD
	v_mul_f32_dpp v247, v253, v119 quad_perm:[3,3,3,3] row_mask:0xf bank_mask:0xf// 000000011B38: 0BEEEEFA FF00FFFD
	v_mul_f32_dpp v248, v254, v120 quad_perm:[0,0,0,0] row_mask:0xf bank_mask:0xf// 000000011B40: 0BF0F0FA FF0000FE
	v_mul_f32_dpp v249, v254, v121 quad_perm:[1,1,1,1] row_mask:0xf bank_mask:0xf// 000000011B48: 0BF2F2FA FF0055FE
	v_mul_f32_dpp v250, v254, v122 quad_perm:[2,2,2,2] row_mask:0xf bank_mask:0xf// 000000011B50: 0BF4F4FA FF00AAFE
	v_mul_f32_dpp v251, v254, v123 quad_perm:[3,3,3,3] row_mask:0xf bank_mask:0xf// 000000011B58: 0BF6F6FA FF00FFFE
	v_mul_f32_dpp v252, v255, v124 quad_perm:[0,0,0,0] row_mask:0xf bank_mask:0xf// 000000011B60: 0BF8F8FA FF0000FF
	v_mul_f32_dpp v253, v255, v125 quad_perm:[1,1,1,1] row_mask:0xf bank_mask:0xf// 000000011B68: 0BFAFAFA FF0055FF
	v_mul_f32_dpp v254, v255, v126 quad_perm:[2,2,2,2] row_mask:0xf bank_mask:0xf// 000000011B70: 0BFCFCFA FF00AAFF
	v_mul_f32_dpp v255, v255, v127 quad_perm:[3,3,3,3] row_mask:0xf bank_mask:0xf// 000000011B78: 0BFEFEFA FF00FFFF
	v_mov_b32_e32 v48, 0x358637bd                              // 000000011B80: 7E6002FF 358637BD
	v_max3_f32 v48, |v240|, |v241|, v48                        // 000000011B88: D1D30330 04C3E3F0
	v_max3_f32 v48, |v242|, |v243|, v48                        // 000000011B90: D1D30330 04C3E7F2
	v_max3_f32 v48, |v244|, |v245|, v48                        // 000000011B98: D1D30330 04C3EBF4
	v_max3_f32 v48, |v246|, |v247|, v48                        // 000000011BA0: D1D30330 04C3EFF6
	v_max3_f32 v48, |v248|, |v249|, v48                        // 000000011BA8: D1D30330 04C3F3F8
	v_max3_f32 v48, |v250|, |v251|, v48                        // 000000011BB0: D1D30330 04C3F7FA
	v_max3_f32 v48, |v252|, |v253|, v48                        // 000000011BB8: D1D30330 04C3FBFC
	v_max3_f32 v48, |v254|, |v255|, v48                        // 000000011BC0: D1D30330 04C3FFFE
	buffer_load_dwordx4 a[76:79], v33, s[20:23], 0 offen       // 000000011BC8: E05C1000 80854C21
	ds_write_b32 v8, v48 offset:20992                          // 000000011BD0: D81A5200 00003008
	v_sub_f32_e32 v49, v11, v15                                // 000000011BD8: 04621F0B
	v_cndmask_b32_e64 v49, v49, 0, s[40:41]                    // 000000011BDC: D1000031 00A10131
	v_mov_b32_e32 v11, v15                                     // 000000011BE4: 7E16030F
	v_mul_f32_e32 v49, s64, v49                                // 000000011BE8: 0A626240
	v_exp_f32_e32 v49, v49                                     // 000000011BEC: 7E624131
	s_waitcnt lgkmcnt(0)                                       // 000000011BF0: BF8CC07F
	s_barrier                                                  // 000000011BF4: BF8A0000
	ds_read_b32 v64, v7 offset:20992                           // 000000011BF8: D86C5200 40000007
	ds_read_b32 v65, v7 offset:21056                           // 000000011C00: D86C5240 41000007
	ds_read_b32 v66, v7 offset:21120                           // 000000011C08: D86C5280 42000007
	ds_read_b32 v67, v7 offset:21184                           // 000000011C10: D86C52C0 43000007
	ds_read_b32 v68, v7 offset:21248                           // 000000011C18: D86C5300 44000007
	ds_read_b32 v69, v7 offset:21312                           // 000000011C20: D86C5340 45000007
	ds_read_b32 v70, v7 offset:21376                           // 000000011C28: D86C5380 46000007
	ds_read_b32 v71, v7 offset:21440                           // 000000011C30: D86C53C0 47000007
	ds_read_b32 v72, v7 offset:21504                           // 000000011C38: D86C5400 48000007
	ds_read_b32 v73, v7 offset:21568                           // 000000011C40: D86C5440 49000007
	ds_read_b32 v74, v7 offset:21632                           // 000000011C48: D86C5480 4A000007
	ds_read_b32 v75, v7 offset:21696                           // 000000011C50: D86C54C0 4B000007
	ds_read_b32 v76, v7 offset:21760                           // 000000011C58: D86C5500 4C000007
	ds_read_b32 v77, v7 offset:21824                           // 000000011C60: D86C5540 4D000007
	ds_read_b32 v78, v7 offset:21888                           // 000000011C68: D86C5580 4E000007
	ds_read_b32 v79, v7 offset:21952                           // 000000011C70: D86C55C0 4F000007
	v_mul_f32_e32 v38, v49, v38                                // 000000011C78: 0A4C4D31
	v_mov_b32_e32 v15, v112                                    // 000000011C7C: 7E1E0370
	v_add_f32_e32 v15, v113, v15                               // 000000011C80: 021E1F71
	v_add_f32_e32 v15, v114, v15                               // 000000011C84: 021E1F72
	v_add_f32_e32 v15, v115, v15                               // 000000011C88: 021E1F73
	v_add_f32_e32 v15, v116, v15                               // 000000011C8C: 021E1F74
	v_add_f32_e32 v15, v117, v15                               // 000000011C90: 021E1F75
	v_add_f32_e32 v15, v118, v15                               // 000000011C94: 021E1F76
	v_add_f32_e32 v15, v119, v15                               // 000000011C98: 021E1F77
	v_add_f32_e32 v15, v120, v15                               // 000000011C9C: 021E1F78
	v_add_f32_e32 v15, v121, v15                               // 000000011CA0: 021E1F79
	v_add_f32_e32 v15, v122, v15                               // 000000011CA4: 021E1F7A
	v_add_f32_e32 v15, v123, v15                               // 000000011CA8: 021E1F7B
	v_add_f32_e32 v15, v124, v15                               // 000000011CAC: 021E1F7C
	v_add_f32_e32 v15, v125, v15                               // 000000011CB0: 021E1F7D
	v_add_f32_e32 v15, v126, v15                               // 000000011CB4: 021E1F7E
	v_add_f32_e32 v15, v127, v15                               // 000000011CB8: 021E1F7F
	v_add_f32_e32 v38, v15, v38                                // 000000011CBC: 024C4D0F
	s_waitcnt lgkmcnt(0)                                       // 000000011CC0: BF8CC07F
	v_max3_f32 v48, |v64|, |v65|, v48                          // 000000011CC4: D1D30330 04C28340
	v_max3_f32 v48, |v66|, |v67|, v48                          // 000000011CCC: D1D30330 04C28742
	v_max3_f32 v48, |v68|, |v69|, v48                          // 000000011CD4: D1D30330 04C28B44
	v_max3_f32 v48, |v70|, |v71|, v48                          // 000000011CDC: D1D30330 04C28F46
	v_max3_f32 v48, |v72|, |v73|, v48                          // 000000011CE4: D1D30330 04C29348
	v_max3_f32 v48, |v74|, |v75|, v48                          // 000000011CEC: D1D30330 04C2974A
	v_max3_f32 v48, |v76|, |v77|, v48                          // 000000011CF4: D1D30330 04C29B4C
	v_max3_f32 v48, |v78|, |v79|, v48                          // 000000011CFC: D1D30330 04C29F4E
	s_nop 2                                                    // 000000011D04: BF800002
	v_rcp_f32_e32 v48, v48                                     // 000000011D08: 7E604530
	s_nop 1                                                    // 000000011D0C: BF800001
	v_mul_f32_e32 v48, 0x42fe0000, v48                         // 000000011D10: 0A6060FF 42FE0000
	v_mul_f32_e32 v112, v48, v240                              // 000000011D18: 0AE1E130
	v_mul_f32_e32 v113, v48, v241                              // 000000011D1C: 0AE3E330
	v_mul_f32_e32 v114, v48, v242                              // 000000011D20: 0AE5E530
	v_mul_f32_e32 v115, v48, v243                              // 000000011D24: 0AE7E730
	v_mul_f32_e32 v116, v48, v244                              // 000000011D28: 0AE9E930
	v_mul_f32_e32 v117, v48, v245                              // 000000011D2C: 0AEBEB30
	v_mul_f32_e32 v118, v48, v246                              // 000000011D30: 0AEDED30
	v_mul_f32_e32 v119, v48, v247                              // 000000011D34: 0AEFEF30
	v_mul_f32_e32 v120, v48, v248                              // 000000011D38: 0AF1F130
	v_mul_f32_e32 v121, v48, v249                              // 000000011D3C: 0AF3F330
	v_mul_f32_e32 v122, v48, v250                              // 000000011D40: 0AF5F530
	v_mul_f32_e32 v123, v48, v251                              // 000000011D44: 0AF7F730
	v_mul_f32_e32 v124, v48, v252                              // 000000011D48: 0AF9F930
	v_mul_f32_e32 v125, v48, v253                              // 000000011D4C: 0AFBFB30
	v_mul_f32_e32 v126, v48, v254                              // 000000011D50: 0AFDFD30
	v_mul_f32_e32 v127, v48, v255                              // 000000011D54: 0AFFFF30
	v_cvt_i32_f32_e32 v112, v112                               // 000000011D58: 7EE01170
	v_cvt_i32_f32_e32 v113, v113                               // 000000011D5C: 7EE21171
	v_cvt_i32_f32_e32 v114, v114                               // 000000011D60: 7EE41172
	v_cvt_i32_f32_e32 v115, v115                               // 000000011D64: 7EE61173
	v_cvt_i32_f32_e32 v116, v116                               // 000000011D68: 7EE81174
	v_cvt_i32_f32_e32 v117, v117                               // 000000011D6C: 7EEA1175
	v_cvt_i32_f32_e32 v118, v118                               // 000000011D70: 7EEC1176
	v_cvt_i32_f32_e32 v119, v119                               // 000000011D74: 7EEE1177
	v_cvt_i32_f32_e32 v120, v120                               // 000000011D78: 7EF01178
	v_cvt_i32_f32_e32 v121, v121                               // 000000011D7C: 7EF21179
	v_cvt_i32_f32_e32 v122, v122                               // 000000011D80: 7EF4117A
	v_cvt_i32_f32_e32 v123, v123                               // 000000011D84: 7EF6117B
	v_cvt_i32_f32_e32 v124, v124                               // 000000011D88: 7EF8117C
	v_cvt_i32_f32_e32 v125, v125                               // 000000011D8C: 7EFA117D
	v_cvt_i32_f32_e32 v126, v126                               // 000000011D90: 7EFC117E
	v_cvt_i32_f32_e32 v127, v127                               // 000000011D94: 7EFE117F
	v_perm_b32 v112, v113, v112, s53                           // 000000011D98: D1ED0070 00D6E171
	v_perm_b32 v112, v114, v112, s54                           // 000000011DA0: D1ED0070 00DAE172
	v_perm_b32 v112, v115, v112, s55                           // 000000011DA8: D1ED0070 00DEE173
	v_perm_b32 v113, v117, v116, s53                           // 000000011DB0: D1ED0071 00D6E975
	v_perm_b32 v113, v118, v113, s54                           // 000000011DB8: D1ED0071 00DAE376
	v_perm_b32 v113, v119, v113, s55                           // 000000011DC0: D1ED0071 00DEE377
	v_perm_b32 v114, v121, v120, s53                           // 000000011DC8: D1ED0072 00D6F179
	v_perm_b32 v114, v122, v114, s54                           // 000000011DD0: D1ED0072 00DAE57A
	v_perm_b32 v114, v123, v114, s55                           // 000000011DD8: D1ED0072 00DEE57B
	v_perm_b32 v115, v125, v124, s53                           // 000000011DE0: D1ED0073 00D6F97D
	v_perm_b32 v115, v126, v115, s54                           // 000000011DE8: D1ED0073 00DAE77E
	v_perm_b32 v115, v127, v115, s55                           // 000000011DF0: D1ED0073 00DEE77F
	ds_write_b32 v10, v112 offset:25088                        // 000000011DF8: D81A6200 0000700A
	ds_write_b32 v10, v113 offset:26112                        // 000000011E00: D81A6600 0000710A
	ds_write_b32 v10, v114 offset:27136                        // 000000011E08: D81A6A00 0000720A
	ds_write_b32 v10, v115 offset:28160                        // 000000011E10: D81A6E00 0000730A
	v_add_f32_e32 v208, v208, v176                             // 000000011E18: 03A161D0
	v_add_f32_e32 v209, v209, v177                             // 000000011E1C: 03A363D1
	v_add_f32_e32 v210, v210, v178                             // 000000011E20: 03A565D2
	v_add_f32_e32 v211, v211, v179                             // 000000011E24: 03A767D3
	v_add_f32_e32 v212, v212, v180                             // 000000011E28: 03A969D4
	v_add_f32_e32 v213, v213, v181                             // 000000011E2C: 03AB6BD5
	v_add_f32_e32 v214, v214, v182                             // 000000011E30: 03AD6DD6
	v_add_f32_e32 v215, v215, v183                             // 000000011E34: 03AF6FD7
	v_rcp_f32_e32 v44, v48                                     // 000000011E38: 7E584530
	s_waitcnt lgkmcnt(0)                                       // 000000011E3C: BF8CC07F
	s_barrier                                                  // 000000011E40: BF8A0000
	ds_read_b64 v[112:113], v9 offset:25088                    // 000000011E44: D8EC6200 70000009
	ds_read_b64 v[114:115], v9 offset:25216                    // 000000011E4C: D8EC6280 72000009
	ds_read_b64 v[116:117], v9 offset:26112                    // 000000011E54: D8EC6600 74000009
	ds_read_b64 v[118:119], v9 offset:26240                    // 000000011E5C: D8EC6680 76000009
	ds_read_b64 v[120:121], v9 offset:27136                    // 000000011E64: D8EC6A00 78000009
	ds_read_b64 v[122:123], v9 offset:27264                    // 000000011E6C: D8EC6A80 7A000009
	ds_read_b64 v[124:125], v9 offset:28160                    // 000000011E74: D8EC6E00 7C000009
	ds_read_b64 v[126:127], v9 offset:28288                    // 000000011E7C: D8EC6E80 7E000009
	v_mov_b32_dpp v64, v43 row_shr:4 row_mask:0xf bank_mask:0xf// 000000011E84: 7E8002FA FF01142B
	v_mov_b32_dpp v65, v43 row_shl:4 row_mask:0xf bank_mask:0xf// 000000011E8C: 7E8202FA FF01042B
	v_cndmask_b32_e64 v248, v43, v64, s[44:45]                 // 000000011E94: D10000F8 00B2812B
	v_cndmask_b32_e64 v249, v65, v43, s[44:45]                 // 000000011E9C: D10000F9 00B25741
	v_mov_b32_dpp v64, v248 row_shr:8 row_mask:0xf bank_mask:0xf// 000000011EA4: 7E8002FA FF0118F8
	v_mov_b32_dpp v65, v248 row_shl:8 row_mask:0xf bank_mask:0xf// 000000011EAC: 7E8202FA FF0108F8
	v_mov_b32_dpp v66, v249 row_shr:8 row_mask:0xf bank_mask:0xf// 000000011EB4: 7E8402FA FF0118F9
	v_mov_b32_dpp v67, v249 row_shl:8 row_mask:0xf bank_mask:0xf// 000000011EBC: 7E8602FA FF0108F9
	v_mov_b32_e32 v68, v248                                    // 000000011EC4: 7E8803F8
	v_mov_b32_e32 v69, v249                                    // 000000011EC8: 7E8A03F9
	v_cndmask_b32_e64 v248, v68, v64, s[42:43]                 // 000000011ECC: D10000F8 00AA8144
	v_cndmask_b32_e64 v250, v68, v65, s[78:79]                 // 000000011ED4: D10000FA 013A8344
	v_cndmask_b32_e64 v249, v69, v66, s[42:43]                 // 000000011EDC: D10000F9 00AA8545
	v_cndmask_b32_e64 v251, v69, v67, s[78:79]                 // 000000011EE4: D10000FB 013A8745
	v_mov_b32_dpp v64, v58 row_shr:4 row_mask:0xf bank_mask:0xf// 000000011EEC: 7E8002FA FF01143A
	v_mov_b32_dpp v65, v58 row_shl:4 row_mask:0xf bank_mask:0xf// 000000011EF4: 7E8202FA FF01043A
	v_cndmask_b32_e64 v252, v58, v64, s[44:45]                 // 000000011EFC: D10000FC 00B2813A
	v_cndmask_b32_e64 v253, v65, v58, s[44:45]                 // 000000011F04: D10000FD 00B27541
	v_mov_b32_dpp v64, v252 row_shr:8 row_mask:0xf bank_mask:0xf// 000000011F0C: 7E8002FA FF0118FC
	v_mov_b32_dpp v65, v252 row_shl:8 row_mask:0xf bank_mask:0xf// 000000011F14: 7E8202FA FF0108FC
	v_mov_b32_dpp v66, v253 row_shr:8 row_mask:0xf bank_mask:0xf// 000000011F1C: 7E8402FA FF0118FD
	v_mov_b32_dpp v67, v253 row_shl:8 row_mask:0xf bank_mask:0xf// 000000011F24: 7E8602FA FF0108FD
	v_mov_b32_e32 v68, v252                                    // 000000011F2C: 7E8803FC
	v_mov_b32_e32 v69, v253                                    // 000000011F30: 7E8A03FD
	v_cndmask_b32_e64 v252, v68, v64, s[42:43]                 // 000000011F34: D10000FC 00AA8144
	v_cndmask_b32_e64 v254, v68, v65, s[78:79]                 // 000000011F3C: D10000FE 013A8344
	v_cndmask_b32_e64 v253, v69, v66, s[42:43]                 // 000000011F44: D10000FD 00AA8545
	v_cndmask_b32_e64 v255, v69, v67, s[78:79]                 // 000000011F4C: D10000FF 013A8745
	v_cvt_f32_i32_e32 v128, v128                               // 000000011F54: 7F000B80
	v_cvt_f32_i32_e32 v129, v129                               // 000000011F58: 7F020B81
	v_cvt_f32_i32_e32 v130, v130                               // 000000011F5C: 7F040B82
	v_cvt_f32_i32_e32 v131, v131                               // 000000011F60: 7F060B83
	v_cvt_f32_i32_e32 v132, v132                               // 000000011F64: 7F080B84
	v_cvt_f32_i32_e32 v133, v133                               // 000000011F68: 7F0A0B85
	v_cvt_f32_i32_e32 v134, v134                               // 000000011F6C: 7F0C0B86
	v_cvt_f32_i32_e32 v135, v135                               // 000000011F70: 7F0E0B87
	v_cvt_f32_i32_e32 v136, v136                               // 000000011F74: 7F100B88
	v_cvt_f32_i32_e32 v137, v137                               // 000000011F78: 7F120B89
	v_cvt_f32_i32_e32 v138, v138                               // 000000011F7C: 7F140B8A
	v_cvt_f32_i32_e32 v139, v139                               // 000000011F80: 7F160B8B
	v_cvt_f32_i32_e32 v140, v140                               // 000000011F84: 7F180B8C
	v_cvt_f32_i32_e32 v141, v141                               // 000000011F88: 7F1A0B8D
	v_cvt_f32_i32_e32 v142, v142                               // 000000011F8C: 7F1C0B8E
	v_cvt_f32_i32_e32 v143, v143                               // 000000011F90: 7F1E0B8F
	v_mul_f32_e32 v128, v19, v128                              // 000000011F94: 0B010113
	v_mul_f32_e32 v129, v19, v129                              // 000000011F98: 0B030313
	v_mul_f32_e32 v130, v19, v130                              // 000000011F9C: 0B050513
	v_mul_f32_e32 v131, v19, v131                              // 000000011FA0: 0B070713
	v_mul_f32_e32 v132, v19, v132                              // 000000011FA4: 0B090913
	v_mul_f32_e32 v133, v19, v133                              // 000000011FA8: 0B0B0B13
	v_mul_f32_e32 v134, v19, v134                              // 000000011FAC: 0B0D0D13
	v_mul_f32_e32 v135, v19, v135                              // 000000011FB0: 0B0F0F13
	v_mul_f32_e32 v136, v19, v136                              // 000000011FB4: 0B111113
	v_mul_f32_e32 v137, v19, v137                              // 000000011FB8: 0B131313
	v_mul_f32_e32 v138, v19, v138                              // 000000011FBC: 0B151513
	v_mul_f32_e32 v139, v19, v139                              // 000000011FC0: 0B171713
	v_mul_f32_e32 v140, v19, v140                              // 000000011FC4: 0B191913
	v_mul_f32_e32 v141, v19, v141                              // 000000011FC8: 0B1B1B13
	v_mul_f32_e32 v142, v19, v142                              // 000000011FCC: 0B1D1D13
	v_mul_f32_e32 v143, v19, v143                              // 000000011FD0: 0B1F1F13
	v_mul_f32_dpp v128, v248, v128 quad_perm:[0,0,0,0] row_mask:0xf bank_mask:0xf// 000000011FD4: 0B0100FA FF0000F8
	v_mul_f32_dpp v129, v248, v129 quad_perm:[1,1,1,1] row_mask:0xf bank_mask:0xf// 000000011FDC: 0B0302FA FF0055F8
	v_mul_f32_dpp v130, v248, v130 quad_perm:[2,2,2,2] row_mask:0xf bank_mask:0xf// 000000011FE4: 0B0504FA FF00AAF8
	v_mul_f32_dpp v131, v248, v131 quad_perm:[3,3,3,3] row_mask:0xf bank_mask:0xf// 000000011FEC: 0B0706FA FF00FFF8
	v_mul_f32_dpp v132, v249, v132 quad_perm:[0,0,0,0] row_mask:0xf bank_mask:0xf// 000000011FF4: 0B0908FA FF0000F9
	v_mul_f32_dpp v133, v249, v133 quad_perm:[1,1,1,1] row_mask:0xf bank_mask:0xf// 000000011FFC: 0B0B0AFA FF0055F9
	v_mul_f32_dpp v134, v249, v134 quad_perm:[2,2,2,2] row_mask:0xf bank_mask:0xf// 000000012004: 0B0D0CFA FF00AAF9
	v_mul_f32_dpp v135, v249, v135 quad_perm:[3,3,3,3] row_mask:0xf bank_mask:0xf// 00000001200C: 0B0F0EFA FF00FFF9
	v_mul_f32_dpp v136, v250, v136 quad_perm:[0,0,0,0] row_mask:0xf bank_mask:0xf// 000000012014: 0B1110FA FF0000FA
	v_mul_f32_dpp v137, v250, v137 quad_perm:[1,1,1,1] row_mask:0xf bank_mask:0xf// 00000001201C: 0B1312FA FF0055FA
	v_mul_f32_dpp v138, v250, v138 quad_perm:[2,2,2,2] row_mask:0xf bank_mask:0xf// 000000012024: 0B1514FA FF00AAFA
	v_mul_f32_dpp v139, v250, v139 quad_perm:[3,3,3,3] row_mask:0xf bank_mask:0xf// 00000001202C: 0B1716FA FF00FFFA
	v_mul_f32_dpp v140, v251, v140 quad_perm:[0,0,0,0] row_mask:0xf bank_mask:0xf// 000000012034: 0B1918FA FF0000FB
	v_mul_f32_dpp v141, v251, v141 quad_perm:[1,1,1,1] row_mask:0xf bank_mask:0xf// 00000001203C: 0B1B1AFA FF0055FB
	v_mul_f32_dpp v142, v251, v142 quad_perm:[2,2,2,2] row_mask:0xf bank_mask:0xf// 000000012044: 0B1D1CFA FF00AAFB
	v_mul_f32_dpp v143, v251, v143 quad_perm:[3,3,3,3] row_mask:0xf bank_mask:0xf// 00000001204C: 0B1F1EFA FF00FFFB
	v_mov_b32_e32 v48, v128                                    // 000000012054: 7E600380
	v_max3_f32 v48, v128, v129, v48                            // 000000012058: D1D30030 04C30380
	v_max3_f32 v48, v130, v131, v48                            // 000000012060: D1D30030 04C30782
	v_max3_f32 v48, v132, v133, v48                            // 000000012068: D1D30030 04C30B84
	v_max3_f32 v48, v134, v135, v48                            // 000000012070: D1D30030 04C30F86
	v_max3_f32 v48, v136, v137, v48                            // 000000012078: D1D30030 04C31388
	v_max3_f32 v48, v138, v139, v48                            // 000000012080: D1D30030 04C3178A
	v_max3_f32 v48, v140, v141, v48                            // 000000012088: D1D30030 04C31B8C
	v_max3_f32 v48, v142, v143, v48                            // 000000012090: D1D30030 04C31F8E
	ds_write_b32 v8, v48 offset:16896                          // 000000012098: D81A4200 00003008
	v_mul_f32_e32 v216, v50, v216                              // 0000000120A0: 0BB1B132
	v_mul_f32_e32 v217, v50, v217                              // 0000000120A4: 0BB3B332
	v_mul_f32_e32 v218, v50, v218                              // 0000000120A8: 0BB5B532
	v_mul_f32_e32 v219, v50, v219                              // 0000000120AC: 0BB7B732
	v_mul_f32_e32 v220, v50, v220                              // 0000000120B0: 0BB9B932
	v_mul_f32_e32 v221, v50, v221                              // 0000000120B4: 0BBBBB32
	v_mul_f32_e32 v222, v50, v222                              // 0000000120B8: 0BBDBD32
	v_mul_f32_e32 v223, v50, v223                              // 0000000120BC: 0BBFBF32
	s_waitcnt lgkmcnt(0)                                       // 0000000120C0: BF8CC07F
	s_barrier                                                  // 0000000120C4: BF8A0000
	ds_read_b32 v64, v7 offset:16896                           // 0000000120C8: D86C4200 40000007
	ds_read_b32 v65, v7 offset:16960                           // 0000000120D0: D86C4240 41000007
	ds_read_b32 v66, v7 offset:17024                           // 0000000120D8: D86C4280 42000007
	ds_read_b32 v67, v7 offset:17088                           // 0000000120E0: D86C42C0 43000007
	ds_read_b32 v68, v7 offset:17152                           // 0000000120E8: D86C4300 44000007
	ds_read_b32 v69, v7 offset:17216                           // 0000000120F0: D86C4340 45000007
	ds_read_b32 v70, v7 offset:17280                           // 0000000120F8: D86C4380 46000007
	ds_read_b32 v71, v7 offset:17344                           // 000000012100: D86C43C0 47000007
	ds_read_b32 v72, v7 offset:17408                           // 000000012108: D86C4400 48000007
	ds_read_b32 v73, v7 offset:17472                           // 000000012110: D86C4440 49000007
	ds_read_b32 v74, v7 offset:17536                           // 000000012118: D86C4480 4A000007
	ds_read_b32 v75, v7 offset:17600                           // 000000012120: D86C44C0 4B000007
	ds_read_b32 v76, v7 offset:17664                           // 000000012128: D86C4500 4C000007
	ds_read_b32 v77, v7 offset:17728                           // 000000012130: D86C4540 4D000007
	ds_read_b32 v78, v7 offset:17792                           // 000000012138: D86C4580 4E000007
	ds_read_b32 v79, v7 offset:17856                           // 000000012140: D86C45C0 4F000007
	v_cvt_f32_i32_e32 v184, v184                               // 000000012148: 7F700BB8
	v_cvt_f32_i32_e32 v185, v185                               // 00000001214C: 7F720BB9
	v_cvt_f32_i32_e32 v186, v186                               // 000000012150: 7F740BBA
	v_cvt_f32_i32_e32 v187, v187                               // 000000012154: 7F760BBB
	v_cvt_f32_i32_e32 v188, v188                               // 000000012158: 7F780BBC
	v_cvt_f32_i32_e32 v189, v189                               // 00000001215C: 7F7A0BBD
	v_cvt_f32_i32_e32 v190, v190                               // 000000012160: 7F7C0BBE
	v_cvt_f32_i32_e32 v191, v191                               // 000000012164: 7F7E0BBF
	v_mul_f32_e32 v184, v45, v184                              // 000000012168: 0B71712D
	v_mul_f32_e32 v185, v45, v185                              // 00000001216C: 0B73732D
	v_mul_f32_e32 v186, v45, v186                              // 000000012170: 0B75752D
	v_mul_f32_e32 v187, v45, v187                              // 000000012174: 0B77772D
	v_mul_f32_e32 v188, v45, v188                              // 000000012178: 0B79792D
	v_mul_f32_e32 v189, v45, v189                              // 00000001217C: 0B7B7B2D
	v_mul_f32_e32 v190, v45, v190                              // 000000012180: 0B7D7D2D
	v_mul_f32_e32 v191, v45, v191                              // 000000012184: 0B7F7F2D
	s_waitcnt lgkmcnt(0)                                       // 000000012188: BF8CC07F
	v_max3_f32 v48, v64, v65, v48                              // 00000001218C: D1D30030 04C28340
	v_max3_f32 v48, v66, v67, v48                              // 000000012194: D1D30030 04C28742
	v_max3_f32 v48, v68, v69, v48                              // 00000001219C: D1D30030 04C28B44
	v_max3_f32 v48, v70, v71, v48                              // 0000000121A4: D1D30030 04C28F46
	v_max3_f32 v48, v72, v73, v48                              // 0000000121AC: D1D30030 04C29348
	v_max3_f32 v48, v74, v75, v48                              // 0000000121B4: D1D30030 04C2974A
	v_max3_f32 v48, v76, v77, v48                              // 0000000121BC: D1D30030 04C29B4C
	v_max3_f32 v48, v78, v79, v48                              // 0000000121C4: D1D30030 04C29F4E
	v_mov_b32_e32 v64, 0xff800000                              // 0000000121CC: 7E8002FF FF800000
	v_cmp_eq_u32_e64 s[40:41], v64, v12                        // 0000000121D4: D0CA0028 00021940
	s_nop 1                                                    // 0000000121DC: BF800001
	v_max_f32_e32 v15, v48, v12                                // 0000000121E0: 161E1930
	v_mul_f32_e32 v53, s64, v15                                // 0000000121E4: 0A6A1E40
	v_fma_f32 v128, v128, s64, -v53                            // 0000000121E8: D1CB0080 84D48180
	v_fma_f32 v129, v129, s64, -v53                            // 0000000121F0: D1CB0081 84D48181
	v_fma_f32 v130, v130, s64, -v53                            // 0000000121F8: D1CB0082 84D48182
	v_fma_f32 v131, v131, s64, -v53                            // 000000012200: D1CB0083 84D48183
	v_fma_f32 v132, v132, s64, -v53                            // 000000012208: D1CB0084 84D48184
	v_fma_f32 v133, v133, s64, -v53                            // 000000012210: D1CB0085 84D48185
	v_fma_f32 v134, v134, s64, -v53                            // 000000012218: D1CB0086 84D48186
	v_fma_f32 v135, v135, s64, -v53                            // 000000012220: D1CB0087 84D48187
	v_fma_f32 v136, v136, s64, -v53                            // 000000012228: D1CB0088 84D48188
	v_fma_f32 v137, v137, s64, -v53                            // 000000012230: D1CB0089 84D48189
	v_fma_f32 v138, v138, s64, -v53                            // 000000012238: D1CB008A 84D4818A
	v_fma_f32 v139, v139, s64, -v53                            // 000000012240: D1CB008B 84D4818B
	v_fma_f32 v140, v140, s64, -v53                            // 000000012248: D1CB008C 84D4818C
	v_fma_f32 v141, v141, s64, -v53                            // 000000012250: D1CB008D 84D4818D
	v_fma_f32 v142, v142, s64, -v53                            // 000000012258: D1CB008E 84D4818E
	v_fma_f32 v143, v143, s64, -v53                            // 000000012260: D1CB008F 84D4818F
	v_exp_f32_e32 v128, v128                                   // 000000012268: 7F004180
	v_exp_f32_e32 v129, v129                                   // 00000001226C: 7F024181
	v_exp_f32_e32 v130, v130                                   // 000000012270: 7F044182
	v_exp_f32_e32 v131, v131                                   // 000000012274: 7F064183
	v_exp_f32_e32 v132, v132                                   // 000000012278: 7F084184
	v_exp_f32_e32 v133, v133                                   // 00000001227C: 7F0A4185
	v_exp_f32_e32 v134, v134                                   // 000000012280: 7F0C4186
	v_exp_f32_e32 v135, v135                                   // 000000012284: 7F0E4187
	v_exp_f32_e32 v136, v136                                   // 000000012288: 7F104188
	v_exp_f32_e32 v137, v137                                   // 00000001228C: 7F124189
	v_exp_f32_e32 v138, v138                                   // 000000012290: 7F14418A
	v_exp_f32_e32 v139, v139                                   // 000000012294: 7F16418B
	v_exp_f32_e32 v140, v140                                   // 000000012298: 7F18418C
	v_exp_f32_e32 v141, v141                                   // 00000001229C: 7F1A418D
	v_exp_f32_e32 v142, v142                                   // 0000000122A0: 7F1C418E
	v_exp_f32_e32 v143, v143                                   // 0000000122A4: 7F1E418F
	v_mul_f32_dpp v240, v252, v128 quad_perm:[0,0,0,0] row_mask:0xf bank_mask:0xf// 0000000122A8: 0BE100FA FF0000FC
	v_mul_f32_dpp v241, v252, v129 quad_perm:[1,1,1,1] row_mask:0xf bank_mask:0xf// 0000000122B0: 0BE302FA FF0055FC
	v_mul_f32_dpp v242, v252, v130 quad_perm:[2,2,2,2] row_mask:0xf bank_mask:0xf// 0000000122B8: 0BE504FA FF00AAFC
	v_mul_f32_dpp v243, v252, v131 quad_perm:[3,3,3,3] row_mask:0xf bank_mask:0xf// 0000000122C0: 0BE706FA FF00FFFC
	v_mul_f32_dpp v244, v253, v132 quad_perm:[0,0,0,0] row_mask:0xf bank_mask:0xf// 0000000122C8: 0BE908FA FF0000FD
	v_mul_f32_dpp v245, v253, v133 quad_perm:[1,1,1,1] row_mask:0xf bank_mask:0xf// 0000000122D0: 0BEB0AFA FF0055FD
	v_mul_f32_dpp v246, v253, v134 quad_perm:[2,2,2,2] row_mask:0xf bank_mask:0xf// 0000000122D8: 0BED0CFA FF00AAFD
	v_mul_f32_dpp v247, v253, v135 quad_perm:[3,3,3,3] row_mask:0xf bank_mask:0xf// 0000000122E0: 0BEF0EFA FF00FFFD
	v_mul_f32_dpp v248, v254, v136 quad_perm:[0,0,0,0] row_mask:0xf bank_mask:0xf// 0000000122E8: 0BF110FA FF0000FE
	v_mul_f32_dpp v249, v254, v137 quad_perm:[1,1,1,1] row_mask:0xf bank_mask:0xf// 0000000122F0: 0BF312FA FF0055FE
	v_mul_f32_dpp v250, v254, v138 quad_perm:[2,2,2,2] row_mask:0xf bank_mask:0xf// 0000000122F8: 0BF514FA FF00AAFE
	v_mul_f32_dpp v251, v254, v139 quad_perm:[3,3,3,3] row_mask:0xf bank_mask:0xf// 000000012300: 0BF716FA FF00FFFE
	v_mul_f32_dpp v252, v255, v140 quad_perm:[0,0,0,0] row_mask:0xf bank_mask:0xf// 000000012308: 0BF918FA FF0000FF
	v_mul_f32_dpp v253, v255, v141 quad_perm:[1,1,1,1] row_mask:0xf bank_mask:0xf// 000000012310: 0BFB1AFA FF0055FF
	v_mul_f32_dpp v254, v255, v142 quad_perm:[2,2,2,2] row_mask:0xf bank_mask:0xf// 000000012318: 0BFD1CFA FF00AAFF
	v_mul_f32_dpp v255, v255, v143 quad_perm:[3,3,3,3] row_mask:0xf bank_mask:0xf// 000000012320: 0BFF1EFA FF00FFFF
	v_mov_b32_e32 v48, 0x358637bd                              // 000000012328: 7E6002FF 358637BD
	v_max3_f32 v48, |v240|, |v241|, v48                        // 000000012330: D1D30330 04C3E3F0
	v_max3_f32 v48, |v242|, |v243|, v48                        // 000000012338: D1D30330 04C3E7F2
	v_max3_f32 v48, |v244|, |v245|, v48                        // 000000012340: D1D30330 04C3EBF4
	v_max3_f32 v48, |v246|, |v247|, v48                        // 000000012348: D1D30330 04C3EFF6
	v_max3_f32 v48, |v248|, |v249|, v48                        // 000000012350: D1D30330 04C3F3F8
	v_max3_f32 v48, |v250|, |v251|, v48                        // 000000012358: D1D30330 04C3F7FA
	v_max3_f32 v48, |v252|, |v253|, v48                        // 000000012360: D1D30330 04C3FBFC
	v_max3_f32 v48, |v254|, |v255|, v48                        // 000000012368: D1D30330 04C3FFFE
	ds_write_b32 v8, v48 offset:20992                          // 000000012370: D81A5200 00003008
	v_sub_f32_e32 v50, v12, v15                                // 000000012378: 04641F0C
	v_cndmask_b32_e64 v50, v50, 0, s[40:41]                    // 00000001237C: D1000032 00A10132
	v_mov_b32_e32 v12, v15                                     // 000000012384: 7E18030F
	v_mul_f32_e32 v50, s64, v50                                // 000000012388: 0A646440
	v_exp_f32_e32 v50, v50                                     // 00000001238C: 7E644132
	s_waitcnt lgkmcnt(0)                                       // 000000012390: BF8CC07F
	s_barrier                                                  // 000000012394: BF8A0000
	ds_read_b32 v64, v7 offset:20992                           // 000000012398: D86C5200 40000007
	ds_read_b32 v65, v7 offset:21056                           // 0000000123A0: D86C5240 41000007
	ds_read_b32 v66, v7 offset:21120                           // 0000000123A8: D86C5280 42000007
	ds_read_b32 v67, v7 offset:21184                           // 0000000123B0: D86C52C0 43000007
	ds_read_b32 v68, v7 offset:21248                           // 0000000123B8: D86C5300 44000007
	ds_read_b32 v69, v7 offset:21312                           // 0000000123C0: D86C5340 45000007
	ds_read_b32 v70, v7 offset:21376                           // 0000000123C8: D86C5380 46000007
	ds_read_b32 v71, v7 offset:21440                           // 0000000123D0: D86C53C0 47000007
	ds_read_b32 v72, v7 offset:21504                           // 0000000123D8: D86C5400 48000007
	ds_read_b32 v73, v7 offset:21568                           // 0000000123E0: D86C5440 49000007
	ds_read_b32 v74, v7 offset:21632                           // 0000000123E8: D86C5480 4A000007
	ds_read_b32 v75, v7 offset:21696                           // 0000000123F0: D86C54C0 4B000007
	ds_read_b32 v76, v7 offset:21760                           // 0000000123F8: D86C5500 4C000007
	ds_read_b32 v77, v7 offset:21824                           // 000000012400: D86C5540 4D000007
	ds_read_b32 v78, v7 offset:21888                           // 000000012408: D86C5580 4E000007
	ds_read_b32 v79, v7 offset:21952                           // 000000012410: D86C55C0 4F000007
	v_mul_f32_e32 v39, v50, v39                                // 000000012418: 0A4E4F32
	v_mov_b32_e32 v15, v128                                    // 00000001241C: 7E1E0380
	v_add_f32_e32 v15, v129, v15                               // 000000012420: 021E1F81
	v_add_f32_e32 v15, v130, v15                               // 000000012424: 021E1F82
	v_add_f32_e32 v15, v131, v15                               // 000000012428: 021E1F83
	v_add_f32_e32 v15, v132, v15                               // 00000001242C: 021E1F84
	v_add_f32_e32 v15, v133, v15                               // 000000012430: 021E1F85
	v_add_f32_e32 v15, v134, v15                               // 000000012434: 021E1F86
	v_add_f32_e32 v15, v135, v15                               // 000000012438: 021E1F87
	v_add_f32_e32 v15, v136, v15                               // 00000001243C: 021E1F88
	v_add_f32_e32 v15, v137, v15                               // 000000012440: 021E1F89
	v_add_f32_e32 v15, v138, v15                               // 000000012444: 021E1F8A
	v_add_f32_e32 v15, v139, v15                               // 000000012448: 021E1F8B
	v_add_f32_e32 v15, v140, v15                               // 00000001244C: 021E1F8C
	v_add_f32_e32 v15, v141, v15                               // 000000012450: 021E1F8D
	v_add_f32_e32 v15, v142, v15                               // 000000012454: 021E1F8E
	v_add_f32_e32 v15, v143, v15                               // 000000012458: 021E1F8F
	v_add_f32_e32 v39, v15, v39                                // 00000001245C: 024E4F0F
	s_waitcnt lgkmcnt(0)                                       // 000000012460: BF8CC07F
	v_max3_f32 v48, |v64|, |v65|, v48                          // 000000012464: D1D30330 04C28340
	v_max3_f32 v48, |v66|, |v67|, v48                          // 00000001246C: D1D30330 04C28742
	v_max3_f32 v48, |v68|, |v69|, v48                          // 000000012474: D1D30330 04C28B44
	v_max3_f32 v48, |v70|, |v71|, v48                          // 00000001247C: D1D30330 04C28F46
	v_max3_f32 v48, |v72|, |v73|, v48                          // 000000012484: D1D30330 04C29348
	v_max3_f32 v48, |v74|, |v75|, v48                          // 00000001248C: D1D30330 04C2974A
	v_max3_f32 v48, |v76|, |v77|, v48                          // 000000012494: D1D30330 04C29B4C
	v_max3_f32 v48, |v78|, |v79|, v48                          // 00000001249C: D1D30330 04C29F4E
	s_nop 2                                                    // 0000000124A4: BF800002
	v_rcp_f32_e32 v48, v48                                     // 0000000124A8: 7E604530
	s_nop 1                                                    // 0000000124AC: BF800001
	v_mul_f32_e32 v48, 0x42fe0000, v48                         // 0000000124B0: 0A6060FF 42FE0000
	v_mul_f32_e32 v128, v48, v240                              // 0000000124B8: 0B01E130
	v_mul_f32_e32 v129, v48, v241                              // 0000000124BC: 0B03E330
	v_mul_f32_e32 v130, v48, v242                              // 0000000124C0: 0B05E530
	v_mul_f32_e32 v131, v48, v243                              // 0000000124C4: 0B07E730
	v_mul_f32_e32 v132, v48, v244                              // 0000000124C8: 0B09E930
	v_mul_f32_e32 v133, v48, v245                              // 0000000124CC: 0B0BEB30
	v_mul_f32_e32 v134, v48, v246                              // 0000000124D0: 0B0DED30
	v_mul_f32_e32 v135, v48, v247                              // 0000000124D4: 0B0FEF30
	v_mul_f32_e32 v136, v48, v248                              // 0000000124D8: 0B11F130
	v_mul_f32_e32 v137, v48, v249                              // 0000000124DC: 0B13F330
	v_mul_f32_e32 v138, v48, v250                              // 0000000124E0: 0B15F530
	v_mul_f32_e32 v139, v48, v251                              // 0000000124E4: 0B17F730
	v_mul_f32_e32 v140, v48, v252                              // 0000000124E8: 0B19F930
	v_mul_f32_e32 v141, v48, v253                              // 0000000124EC: 0B1BFB30
	v_mul_f32_e32 v142, v48, v254                              // 0000000124F0: 0B1DFD30
	v_mul_f32_e32 v143, v48, v255                              // 0000000124F4: 0B1FFF30
	v_cvt_i32_f32_e32 v128, v128                               // 0000000124F8: 7F001180
	v_cvt_i32_f32_e32 v129, v129                               // 0000000124FC: 7F021181
	v_cvt_i32_f32_e32 v130, v130                               // 000000012500: 7F041182
	v_cvt_i32_f32_e32 v131, v131                               // 000000012504: 7F061183
	v_cvt_i32_f32_e32 v132, v132                               // 000000012508: 7F081184
	v_cvt_i32_f32_e32 v133, v133                               // 00000001250C: 7F0A1185
	v_cvt_i32_f32_e32 v134, v134                               // 000000012510: 7F0C1186
	v_cvt_i32_f32_e32 v135, v135                               // 000000012514: 7F0E1187
	v_cvt_i32_f32_e32 v136, v136                               // 000000012518: 7F101188
	v_cvt_i32_f32_e32 v137, v137                               // 00000001251C: 7F121189
	v_cvt_i32_f32_e32 v138, v138                               // 000000012520: 7F14118A
	v_cvt_i32_f32_e32 v139, v139                               // 000000012524: 7F16118B
	v_cvt_i32_f32_e32 v140, v140                               // 000000012528: 7F18118C
	v_cvt_i32_f32_e32 v141, v141                               // 00000001252C: 7F1A118D
	v_cvt_i32_f32_e32 v142, v142                               // 000000012530: 7F1C118E
	v_cvt_i32_f32_e32 v143, v143                               // 000000012534: 7F1E118F
	v_perm_b32 v128, v129, v128, s53                           // 000000012538: D1ED0080 00D70181
	v_perm_b32 v128, v130, v128, s54                           // 000000012540: D1ED0080 00DB0182
	v_perm_b32 v128, v131, v128, s55                           // 000000012548: D1ED0080 00DF0183
	v_perm_b32 v129, v133, v132, s53                           // 000000012550: D1ED0081 00D70985
	v_perm_b32 v129, v134, v129, s54                           // 000000012558: D1ED0081 00DB0386
	v_perm_b32 v129, v135, v129, s55                           // 000000012560: D1ED0081 00DF0387
	v_perm_b32 v130, v137, v136, s53                           // 000000012568: D1ED0082 00D71189
	v_perm_b32 v130, v138, v130, s54                           // 000000012570: D1ED0082 00DB058A
	v_perm_b32 v130, v139, v130, s55                           // 000000012578: D1ED0082 00DF058B
	v_perm_b32 v131, v141, v140, s53                           // 000000012580: D1ED0083 00D7198D
	v_perm_b32 v131, v142, v131, s54                           // 000000012588: D1ED0083 00DB078E
	v_perm_b32 v131, v143, v131, s55                           // 000000012590: D1ED0083 00DF078F
	ds_write_b32 v10, v128 offset:29184                        // 000000012598: D81A7200 0000800A
	ds_write_b32 v10, v129 offset:30208                        // 0000000125A0: D81A7600 0000810A
	ds_write_b32 v10, v130 offset:31232                        // 0000000125A8: D81A7A00 0000820A
	ds_write_b32 v10, v131 offset:32256                        // 0000000125B0: D81A7E00 0000830A
	v_add_f32_e32 v216, v216, v184                             // 0000000125B8: 03B171D8
	v_add_f32_e32 v217, v217, v185                             // 0000000125BC: 03B373D9
	v_add_f32_e32 v218, v218, v186                             // 0000000125C0: 03B575DA
	v_add_f32_e32 v219, v219, v187                             // 0000000125C4: 03B777DB
	v_add_f32_e32 v220, v220, v188                             // 0000000125C8: 03B979DC
	v_add_f32_e32 v221, v221, v189                             // 0000000125CC: 03BB7BDD
	v_add_f32_e32 v222, v222, v190                             // 0000000125D0: 03BD7DDE
	v_add_f32_e32 v223, v223, v191                             // 0000000125D4: 03BF7FDF
	v_rcp_f32_e32 v45, v48                                     // 0000000125D8: 7E5A4530
	s_waitcnt lgkmcnt(0)                                       // 0000000125DC: BF8CC07F
	s_barrier                                                  // 0000000125E0: BF8A0000
	ds_read_b64 v[128:129], v9 offset:29184                    // 0000000125E4: D8EC7200 80000009
	ds_read_b64 v[130:131], v9 offset:29312                    // 0000000125EC: D8EC7280 82000009
	ds_read_b64 v[132:133], v9 offset:30208                    // 0000000125F4: D8EC7600 84000009
	ds_read_b64 v[134:135], v9 offset:30336                    // 0000000125FC: D8EC7680 86000009
	ds_read_b64 v[136:137], v9 offset:31232                    // 000000012604: D8EC7A00 88000009
	ds_read_b64 v[138:139], v9 offset:31360                    // 00000001260C: D8EC7A80 8A000009
	ds_read_b64 v[140:141], v9 offset:32256                    // 000000012614: D8EC7E00 8C000009
	ds_read_b64 v[142:143], v9 offset:32384                    // 00000001261C: D8EC7E80 8E000009
	v_mov_b32_dpp v64, v43 row_shr:4 row_mask:0xf bank_mask:0xf// 000000012624: 7E8002FA FF01142B
	v_mov_b32_dpp v65, v43 row_shl:4 row_mask:0xf bank_mask:0xf// 00000001262C: 7E8202FA FF01042B
	v_cndmask_b32_e64 v248, v43, v64, s[44:45]                 // 000000012634: D10000F8 00B2812B
	v_cndmask_b32_e64 v249, v65, v43, s[44:45]                 // 00000001263C: D10000F9 00B25741
	v_mov_b32_dpp v64, v248 row_shr:8 row_mask:0xf bank_mask:0xf// 000000012644: 7E8002FA FF0118F8
	v_mov_b32_dpp v65, v248 row_shl:8 row_mask:0xf bank_mask:0xf// 00000001264C: 7E8202FA FF0108F8
	v_mov_b32_dpp v66, v249 row_shr:8 row_mask:0xf bank_mask:0xf// 000000012654: 7E8402FA FF0118F9
	v_mov_b32_dpp v67, v249 row_shl:8 row_mask:0xf bank_mask:0xf// 00000001265C: 7E8602FA FF0108F9
	v_mov_b32_e32 v68, v248                                    // 000000012664: 7E8803F8
	v_mov_b32_e32 v69, v249                                    // 000000012668: 7E8A03F9
	v_cndmask_b32_e64 v248, v68, v64, s[42:43]                 // 00000001266C: D10000F8 00AA8144
	v_cndmask_b32_e64 v250, v68, v65, s[78:79]                 // 000000012674: D10000FA 013A8344
	v_cndmask_b32_e64 v249, v69, v66, s[42:43]                 // 00000001267C: D10000F9 00AA8545
	v_cndmask_b32_e64 v251, v69, v67, s[78:79]                 // 000000012684: D10000FB 013A8745
	v_mov_b32_dpp v64, v58 row_shr:4 row_mask:0xf bank_mask:0xf// 00000001268C: 7E8002FA FF01143A
	v_mov_b32_dpp v65, v58 row_shl:4 row_mask:0xf bank_mask:0xf// 000000012694: 7E8202FA FF01043A
	v_cndmask_b32_e64 v252, v58, v64, s[44:45]                 // 00000001269C: D10000FC 00B2813A
	v_cndmask_b32_e64 v253, v65, v58, s[44:45]                 // 0000000126A4: D10000FD 00B27541
	v_mov_b32_dpp v64, v252 row_shr:8 row_mask:0xf bank_mask:0xf// 0000000126AC: 7E8002FA FF0118FC
	v_mov_b32_dpp v65, v252 row_shl:8 row_mask:0xf bank_mask:0xf// 0000000126B4: 7E8202FA FF0108FC
	v_mov_b32_dpp v66, v253 row_shr:8 row_mask:0xf bank_mask:0xf// 0000000126BC: 7E8402FA FF0118FD
	v_mov_b32_dpp v67, v253 row_shl:8 row_mask:0xf bank_mask:0xf// 0000000126C4: 7E8602FA FF0108FD
	v_mov_b32_e32 v68, v252                                    // 0000000126CC: 7E8803FC
	v_mov_b32_e32 v69, v253                                    // 0000000126D0: 7E8A03FD
	v_cndmask_b32_e64 v252, v68, v64, s[42:43]                 // 0000000126D4: D10000FC 00AA8144
	v_cndmask_b32_e64 v254, v68, v65, s[78:79]                 // 0000000126DC: D10000FE 013A8344
	v_cndmask_b32_e64 v253, v69, v66, s[42:43]                 // 0000000126E4: D10000FD 00AA8545
	v_cndmask_b32_e64 v255, v69, v67, s[78:79]                 // 0000000126EC: D10000FF 013A8745
	v_cvt_f32_i32_e32 v144, v144                               // 0000000126F4: 7F200B90
	v_cvt_f32_i32_e32 v145, v145                               // 0000000126F8: 7F220B91
	v_cvt_f32_i32_e32 v146, v146                               // 0000000126FC: 7F240B92
	v_cvt_f32_i32_e32 v147, v147                               // 000000012700: 7F260B93
	v_cvt_f32_i32_e32 v148, v148                               // 000000012704: 7F280B94
	v_cvt_f32_i32_e32 v149, v149                               // 000000012708: 7F2A0B95
	v_cvt_f32_i32_e32 v150, v150                               // 00000001270C: 7F2C0B96
	v_cvt_f32_i32_e32 v151, v151                               // 000000012710: 7F2E0B97
	v_cvt_f32_i32_e32 v152, v152                               // 000000012714: 7F300B98
	v_cvt_f32_i32_e32 v153, v153                               // 000000012718: 7F320B99
	v_cvt_f32_i32_e32 v154, v154                               // 00000001271C: 7F340B9A
	v_cvt_f32_i32_e32 v155, v155                               // 000000012720: 7F360B9B
	v_cvt_f32_i32_e32 v156, v156                               // 000000012724: 7F380B9C
	v_cvt_f32_i32_e32 v157, v157                               // 000000012728: 7F3A0B9D
	v_cvt_f32_i32_e32 v158, v158                               // 00000001272C: 7F3C0B9E
	v_cvt_f32_i32_e32 v159, v159                               // 000000012730: 7F3E0B9F
	v_mul_f32_e32 v144, v20, v144                              // 000000012734: 0B212114
	v_mul_f32_e32 v145, v20, v145                              // 000000012738: 0B232314
	v_mul_f32_e32 v146, v20, v146                              // 00000001273C: 0B252514
	v_mul_f32_e32 v147, v20, v147                              // 000000012740: 0B272714
	v_mul_f32_e32 v148, v20, v148                              // 000000012744: 0B292914
	v_mul_f32_e32 v149, v20, v149                              // 000000012748: 0B2B2B14
	v_mul_f32_e32 v150, v20, v150                              // 00000001274C: 0B2D2D14
	v_mul_f32_e32 v151, v20, v151                              // 000000012750: 0B2F2F14
	v_mul_f32_e32 v152, v20, v152                              // 000000012754: 0B313114
	v_mul_f32_e32 v153, v20, v153                              // 000000012758: 0B333314
	v_mul_f32_e32 v154, v20, v154                              // 00000001275C: 0B353514
	v_mul_f32_e32 v155, v20, v155                              // 000000012760: 0B373714
	v_mul_f32_e32 v156, v20, v156                              // 000000012764: 0B393914
	v_mul_f32_e32 v157, v20, v157                              // 000000012768: 0B3B3B14
	v_mul_f32_e32 v158, v20, v158                              // 00000001276C: 0B3D3D14
	v_mul_f32_e32 v159, v20, v159                              // 000000012770: 0B3F3F14
	v_mul_f32_dpp v144, v248, v144 quad_perm:[0,0,0,0] row_mask:0xf bank_mask:0xf// 000000012774: 0B2120FA FF0000F8
	v_mul_f32_dpp v145, v248, v145 quad_perm:[1,1,1,1] row_mask:0xf bank_mask:0xf// 00000001277C: 0B2322FA FF0055F8
	v_mul_f32_dpp v146, v248, v146 quad_perm:[2,2,2,2] row_mask:0xf bank_mask:0xf// 000000012784: 0B2524FA FF00AAF8
	v_mul_f32_dpp v147, v248, v147 quad_perm:[3,3,3,3] row_mask:0xf bank_mask:0xf// 00000001278C: 0B2726FA FF00FFF8
	v_mul_f32_dpp v148, v249, v148 quad_perm:[0,0,0,0] row_mask:0xf bank_mask:0xf// 000000012794: 0B2928FA FF0000F9
	v_mul_f32_dpp v149, v249, v149 quad_perm:[1,1,1,1] row_mask:0xf bank_mask:0xf// 00000001279C: 0B2B2AFA FF0055F9
	v_mul_f32_dpp v150, v249, v150 quad_perm:[2,2,2,2] row_mask:0xf bank_mask:0xf// 0000000127A4: 0B2D2CFA FF00AAF9
	v_mul_f32_dpp v151, v249, v151 quad_perm:[3,3,3,3] row_mask:0xf bank_mask:0xf// 0000000127AC: 0B2F2EFA FF00FFF9
	v_mul_f32_dpp v152, v250, v152 quad_perm:[0,0,0,0] row_mask:0xf bank_mask:0xf// 0000000127B4: 0B3130FA FF0000FA
	v_mul_f32_dpp v153, v250, v153 quad_perm:[1,1,1,1] row_mask:0xf bank_mask:0xf// 0000000127BC: 0B3332FA FF0055FA
	v_mul_f32_dpp v154, v250, v154 quad_perm:[2,2,2,2] row_mask:0xf bank_mask:0xf// 0000000127C4: 0B3534FA FF00AAFA
	v_mul_f32_dpp v155, v250, v155 quad_perm:[3,3,3,3] row_mask:0xf bank_mask:0xf// 0000000127CC: 0B3736FA FF00FFFA
	v_mul_f32_dpp v156, v251, v156 quad_perm:[0,0,0,0] row_mask:0xf bank_mask:0xf// 0000000127D4: 0B3938FA FF0000FB
	v_mul_f32_dpp v157, v251, v157 quad_perm:[1,1,1,1] row_mask:0xf bank_mask:0xf// 0000000127DC: 0B3B3AFA FF0055FB
	v_mul_f32_dpp v158, v251, v158 quad_perm:[2,2,2,2] row_mask:0xf bank_mask:0xf// 0000000127E4: 0B3D3CFA FF00AAFB
	v_mul_f32_dpp v159, v251, v159 quad_perm:[3,3,3,3] row_mask:0xf bank_mask:0xf// 0000000127EC: 0B3F3EFA FF00FFFB
	v_mov_b32_e32 v48, v144                                    // 0000000127F4: 7E600390
	v_max3_f32 v48, v144, v145, v48                            // 0000000127F8: D1D30030 04C32390
	v_max3_f32 v48, v146, v147, v48                            // 000000012800: D1D30030 04C32792
	v_max3_f32 v48, v148, v149, v48                            // 000000012808: D1D30030 04C32B94
	v_max3_f32 v48, v150, v151, v48                            // 000000012810: D1D30030 04C32F96
	v_max3_f32 v48, v152, v153, v48                            // 000000012818: D1D30030 04C33398
	v_max3_f32 v48, v154, v155, v48                            // 000000012820: D1D30030 04C3379A
	v_max3_f32 v48, v156, v157, v48                            // 000000012828: D1D30030 04C33B9C
	v_max3_f32 v48, v158, v159, v48                            // 000000012830: D1D30030 04C33F9E
	ds_write_b32 v8, v48 offset:16896                          // 000000012838: D81A4200 00003008
	v_mul_f32_e32 v224, v51, v224                              // 000000012840: 0BC1C133
	v_mul_f32_e32 v225, v51, v225                              // 000000012844: 0BC3C333
	v_mul_f32_e32 v226, v51, v226                              // 000000012848: 0BC5C533
	v_mul_f32_e32 v227, v51, v227                              // 00000001284C: 0BC7C733
	v_mul_f32_e32 v228, v51, v228                              // 000000012850: 0BC9C933
	v_mul_f32_e32 v229, v51, v229                              // 000000012854: 0BCBCB33
	v_mul_f32_e32 v230, v51, v230                              // 000000012858: 0BCDCD33
	v_mul_f32_e32 v231, v51, v231                              // 00000001285C: 0BCFCF33
	s_waitcnt lgkmcnt(0)                                       // 000000012860: BF8CC07F
	s_barrier                                                  // 000000012864: BF8A0000
	ds_read_b32 v64, v7 offset:16896                           // 000000012868: D86C4200 40000007
	ds_read_b32 v65, v7 offset:16960                           // 000000012870: D86C4240 41000007
	ds_read_b32 v66, v7 offset:17024                           // 000000012878: D86C4280 42000007
	ds_read_b32 v67, v7 offset:17088                           // 000000012880: D86C42C0 43000007
	ds_read_b32 v68, v7 offset:17152                           // 000000012888: D86C4300 44000007
	ds_read_b32 v69, v7 offset:17216                           // 000000012890: D86C4340 45000007
	ds_read_b32 v70, v7 offset:17280                           // 000000012898: D86C4380 46000007
	ds_read_b32 v71, v7 offset:17344                           // 0000000128A0: D86C43C0 47000007
	ds_read_b32 v72, v7 offset:17408                           // 0000000128A8: D86C4400 48000007
	ds_read_b32 v73, v7 offset:17472                           // 0000000128B0: D86C4440 49000007
	ds_read_b32 v74, v7 offset:17536                           // 0000000128B8: D86C4480 4A000007
	ds_read_b32 v75, v7 offset:17600                           // 0000000128C0: D86C44C0 4B000007
	ds_read_b32 v76, v7 offset:17664                           // 0000000128C8: D86C4500 4C000007
	ds_read_b32 v77, v7 offset:17728                           // 0000000128D0: D86C4540 4D000007
	ds_read_b32 v78, v7 offset:17792                           // 0000000128D8: D86C4580 4E000007
	ds_read_b32 v79, v7 offset:17856                           // 0000000128E0: D86C45C0 4F000007
	v_cvt_f32_i32_e32 v192, v192                               // 0000000128E8: 7F800BC0
	v_cvt_f32_i32_e32 v193, v193                               // 0000000128EC: 7F820BC1
	v_cvt_f32_i32_e32 v194, v194                               // 0000000128F0: 7F840BC2
	v_cvt_f32_i32_e32 v195, v195                               // 0000000128F4: 7F860BC3
	v_cvt_f32_i32_e32 v196, v196                               // 0000000128F8: 7F880BC4
	v_cvt_f32_i32_e32 v197, v197                               // 0000000128FC: 7F8A0BC5
	v_cvt_f32_i32_e32 v198, v198                               // 000000012900: 7F8C0BC6
	v_cvt_f32_i32_e32 v199, v199                               // 000000012904: 7F8E0BC7
	v_mul_f32_e32 v192, v46, v192                              // 000000012908: 0B81812E
	v_mul_f32_e32 v193, v46, v193                              // 00000001290C: 0B83832E
	v_mul_f32_e32 v194, v46, v194                              // 000000012910: 0B85852E
	v_mul_f32_e32 v195, v46, v195                              // 000000012914: 0B87872E
	v_mul_f32_e32 v196, v46, v196                              // 000000012918: 0B89892E
	v_mul_f32_e32 v197, v46, v197                              // 00000001291C: 0B8B8B2E
	v_mul_f32_e32 v198, v46, v198                              // 000000012920: 0B8D8D2E
	v_mul_f32_e32 v199, v46, v199                              // 000000012924: 0B8F8F2E
	s_waitcnt lgkmcnt(0)                                       // 000000012928: BF8CC07F
	v_max3_f32 v48, v64, v65, v48                              // 00000001292C: D1D30030 04C28340
	v_max3_f32 v48, v66, v67, v48                              // 000000012934: D1D30030 04C28742
	v_max3_f32 v48, v68, v69, v48                              // 00000001293C: D1D30030 04C28B44
	v_max3_f32 v48, v70, v71, v48                              // 000000012944: D1D30030 04C28F46
	v_max3_f32 v48, v72, v73, v48                              // 00000001294C: D1D30030 04C29348
	v_max3_f32 v48, v74, v75, v48                              // 000000012954: D1D30030 04C2974A
	v_max3_f32 v48, v76, v77, v48                              // 00000001295C: D1D30030 04C29B4C
	v_max3_f32 v48, v78, v79, v48                              // 000000012964: D1D30030 04C29F4E
	v_mov_b32_e32 v64, 0xff800000                              // 00000001296C: 7E8002FF FF800000
	v_cmp_eq_u32_e64 s[40:41], v64, v13                        // 000000012974: D0CA0028 00021B40
	s_nop 1                                                    // 00000001297C: BF800001
	v_max_f32_e32 v15, v48, v13                                // 000000012980: 161E1B30
	v_mul_f32_e32 v53, s64, v15                                // 000000012984: 0A6A1E40
	v_fma_f32 v144, v144, s64, -v53                            // 000000012988: D1CB0090 84D48190
	v_fma_f32 v145, v145, s64, -v53                            // 000000012990: D1CB0091 84D48191
	v_fma_f32 v146, v146, s64, -v53                            // 000000012998: D1CB0092 84D48192
	v_fma_f32 v147, v147, s64, -v53                            // 0000000129A0: D1CB0093 84D48193
	v_fma_f32 v148, v148, s64, -v53                            // 0000000129A8: D1CB0094 84D48194
	v_fma_f32 v149, v149, s64, -v53                            // 0000000129B0: D1CB0095 84D48195
	v_fma_f32 v150, v150, s64, -v53                            // 0000000129B8: D1CB0096 84D48196
	v_fma_f32 v151, v151, s64, -v53                            // 0000000129C0: D1CB0097 84D48197
	v_fma_f32 v152, v152, s64, -v53                            // 0000000129C8: D1CB0098 84D48198
	v_fma_f32 v153, v153, s64, -v53                            // 0000000129D0: D1CB0099 84D48199
	v_fma_f32 v154, v154, s64, -v53                            // 0000000129D8: D1CB009A 84D4819A
	v_fma_f32 v155, v155, s64, -v53                            // 0000000129E0: D1CB009B 84D4819B
	v_fma_f32 v156, v156, s64, -v53                            // 0000000129E8: D1CB009C 84D4819C
	v_fma_f32 v157, v157, s64, -v53                            // 0000000129F0: D1CB009D 84D4819D
	v_fma_f32 v158, v158, s64, -v53                            // 0000000129F8: D1CB009E 84D4819E
	v_fma_f32 v159, v159, s64, -v53                            // 000000012A00: D1CB009F 84D4819F
	v_exp_f32_e32 v144, v144                                   // 000000012A08: 7F204190
	v_exp_f32_e32 v145, v145                                   // 000000012A0C: 7F224191
	v_exp_f32_e32 v146, v146                                   // 000000012A10: 7F244192
	v_exp_f32_e32 v147, v147                                   // 000000012A14: 7F264193
	v_exp_f32_e32 v148, v148                                   // 000000012A18: 7F284194
	v_exp_f32_e32 v149, v149                                   // 000000012A1C: 7F2A4195
	v_exp_f32_e32 v150, v150                                   // 000000012A20: 7F2C4196
	v_exp_f32_e32 v151, v151                                   // 000000012A24: 7F2E4197
	v_exp_f32_e32 v152, v152                                   // 000000012A28: 7F304198
	v_exp_f32_e32 v153, v153                                   // 000000012A2C: 7F324199
	v_exp_f32_e32 v154, v154                                   // 000000012A30: 7F34419A
	v_exp_f32_e32 v155, v155                                   // 000000012A34: 7F36419B
	v_exp_f32_e32 v156, v156                                   // 000000012A38: 7F38419C
	v_exp_f32_e32 v157, v157                                   // 000000012A3C: 7F3A419D
	v_exp_f32_e32 v158, v158                                   // 000000012A40: 7F3C419E
	v_exp_f32_e32 v159, v159                                   // 000000012A44: 7F3E419F
	v_mul_f32_dpp v240, v252, v144 quad_perm:[0,0,0,0] row_mask:0xf bank_mask:0xf// 000000012A48: 0BE120FA FF0000FC
	v_mul_f32_dpp v241, v252, v145 quad_perm:[1,1,1,1] row_mask:0xf bank_mask:0xf// 000000012A50: 0BE322FA FF0055FC
	v_mul_f32_dpp v242, v252, v146 quad_perm:[2,2,2,2] row_mask:0xf bank_mask:0xf// 000000012A58: 0BE524FA FF00AAFC
	v_mul_f32_dpp v243, v252, v147 quad_perm:[3,3,3,3] row_mask:0xf bank_mask:0xf// 000000012A60: 0BE726FA FF00FFFC
	v_mul_f32_dpp v244, v253, v148 quad_perm:[0,0,0,0] row_mask:0xf bank_mask:0xf// 000000012A68: 0BE928FA FF0000FD
	v_mul_f32_dpp v245, v253, v149 quad_perm:[1,1,1,1] row_mask:0xf bank_mask:0xf// 000000012A70: 0BEB2AFA FF0055FD
	v_mul_f32_dpp v246, v253, v150 quad_perm:[2,2,2,2] row_mask:0xf bank_mask:0xf// 000000012A78: 0BED2CFA FF00AAFD
	v_mul_f32_dpp v247, v253, v151 quad_perm:[3,3,3,3] row_mask:0xf bank_mask:0xf// 000000012A80: 0BEF2EFA FF00FFFD
	v_mul_f32_dpp v248, v254, v152 quad_perm:[0,0,0,0] row_mask:0xf bank_mask:0xf// 000000012A88: 0BF130FA FF0000FE
	v_mul_f32_dpp v249, v254, v153 quad_perm:[1,1,1,1] row_mask:0xf bank_mask:0xf// 000000012A90: 0BF332FA FF0055FE
	v_mul_f32_dpp v250, v254, v154 quad_perm:[2,2,2,2] row_mask:0xf bank_mask:0xf// 000000012A98: 0BF534FA FF00AAFE
	v_mul_f32_dpp v251, v254, v155 quad_perm:[3,3,3,3] row_mask:0xf bank_mask:0xf// 000000012AA0: 0BF736FA FF00FFFE
	v_mul_f32_dpp v252, v255, v156 quad_perm:[0,0,0,0] row_mask:0xf bank_mask:0xf// 000000012AA8: 0BF938FA FF0000FF
	v_mul_f32_dpp v253, v255, v157 quad_perm:[1,1,1,1] row_mask:0xf bank_mask:0xf// 000000012AB0: 0BFB3AFA FF0055FF
	v_mul_f32_dpp v254, v255, v158 quad_perm:[2,2,2,2] row_mask:0xf bank_mask:0xf// 000000012AB8: 0BFD3CFA FF00AAFF
	v_mul_f32_dpp v255, v255, v159 quad_perm:[3,3,3,3] row_mask:0xf bank_mask:0xf// 000000012AC0: 0BFF3EFA FF00FFFF
	v_mov_b32_e32 v48, 0x358637bd                              // 000000012AC8: 7E6002FF 358637BD
	v_max3_f32 v48, |v240|, |v241|, v48                        // 000000012AD0: D1D30330 04C3E3F0
	v_max3_f32 v48, |v242|, |v243|, v48                        // 000000012AD8: D1D30330 04C3E7F2
	v_max3_f32 v48, |v244|, |v245|, v48                        // 000000012AE0: D1D30330 04C3EBF4
	v_max3_f32 v48, |v246|, |v247|, v48                        // 000000012AE8: D1D30330 04C3EFF6
	v_max3_f32 v48, |v248|, |v249|, v48                        // 000000012AF0: D1D30330 04C3F3F8
	v_max3_f32 v48, |v250|, |v251|, v48                        // 000000012AF8: D1D30330 04C3F7FA
	v_max3_f32 v48, |v252|, |v253|, v48                        // 000000012B00: D1D30330 04C3FBFC
	v_max3_f32 v48, |v254|, |v255|, v48                        // 000000012B08: D1D30330 04C3FFFE
	ds_write_b32 v8, v48 offset:20992                          // 000000012B10: D81A5200 00003008
	v_sub_f32_e32 v51, v13, v15                                // 000000012B18: 04661F0D
	v_cndmask_b32_e64 v51, v51, 0, s[40:41]                    // 000000012B1C: D1000033 00A10133
	v_mov_b32_e32 v13, v15                                     // 000000012B24: 7E1A030F
	v_mul_f32_e32 v51, s64, v51                                // 000000012B28: 0A666640
	v_exp_f32_e32 v51, v51                                     // 000000012B2C: 7E664133
	s_waitcnt lgkmcnt(0)                                       // 000000012B30: BF8CC07F
	s_barrier                                                  // 000000012B34: BF8A0000
	ds_read_b32 v64, v7 offset:20992                           // 000000012B38: D86C5200 40000007
	ds_read_b32 v65, v7 offset:21056                           // 000000012B40: D86C5240 41000007
	ds_read_b32 v66, v7 offset:21120                           // 000000012B48: D86C5280 42000007
	ds_read_b32 v67, v7 offset:21184                           // 000000012B50: D86C52C0 43000007
	ds_read_b32 v68, v7 offset:21248                           // 000000012B58: D86C5300 44000007
	ds_read_b32 v69, v7 offset:21312                           // 000000012B60: D86C5340 45000007
	ds_read_b32 v70, v7 offset:21376                           // 000000012B68: D86C5380 46000007
	ds_read_b32 v71, v7 offset:21440                           // 000000012B70: D86C53C0 47000007
	ds_read_b32 v72, v7 offset:21504                           // 000000012B78: D86C5400 48000007
	ds_read_b32 v73, v7 offset:21568                           // 000000012B80: D86C5440 49000007
	ds_read_b32 v74, v7 offset:21632                           // 000000012B88: D86C5480 4A000007
	ds_read_b32 v75, v7 offset:21696                           // 000000012B90: D86C54C0 4B000007
	ds_read_b32 v76, v7 offset:21760                           // 000000012B98: D86C5500 4C000007
	ds_read_b32 v77, v7 offset:21824                           // 000000012BA0: D86C5540 4D000007
	ds_read_b32 v78, v7 offset:21888                           // 000000012BA8: D86C5580 4E000007
	ds_read_b32 v79, v7 offset:21952                           // 000000012BB0: D86C55C0 4F000007
	v_mul_f32_e32 v40, v51, v40                                // 000000012BB8: 0A505133
	v_mov_b32_e32 v15, v144                                    // 000000012BBC: 7E1E0390
	v_add_f32_e32 v15, v145, v15                               // 000000012BC0: 021E1F91
	v_add_f32_e32 v15, v146, v15                               // 000000012BC4: 021E1F92
	v_add_f32_e32 v15, v147, v15                               // 000000012BC8: 021E1F93
	v_add_f32_e32 v15, v148, v15                               // 000000012BCC: 021E1F94
	v_add_f32_e32 v15, v149, v15                               // 000000012BD0: 021E1F95
	v_add_f32_e32 v15, v150, v15                               // 000000012BD4: 021E1F96
	v_add_f32_e32 v15, v151, v15                               // 000000012BD8: 021E1F97
	v_add_f32_e32 v15, v152, v15                               // 000000012BDC: 021E1F98
	v_add_f32_e32 v15, v153, v15                               // 000000012BE0: 021E1F99
	v_add_f32_e32 v15, v154, v15                               // 000000012BE4: 021E1F9A
	v_add_f32_e32 v15, v155, v15                               // 000000012BE8: 021E1F9B
	v_add_f32_e32 v15, v156, v15                               // 000000012BEC: 021E1F9C
	v_add_f32_e32 v15, v157, v15                               // 000000012BF0: 021E1F9D
	v_add_f32_e32 v15, v158, v15                               // 000000012BF4: 021E1F9E
	v_add_f32_e32 v15, v159, v15                               // 000000012BF8: 021E1F9F
	v_add_f32_e32 v40, v15, v40                                // 000000012BFC: 0250510F
	s_waitcnt lgkmcnt(0)                                       // 000000012C00: BF8CC07F
	v_max3_f32 v48, |v64|, |v65|, v48                          // 000000012C04: D1D30330 04C28340
	v_max3_f32 v48, |v66|, |v67|, v48                          // 000000012C0C: D1D30330 04C28742
	v_max3_f32 v48, |v68|, |v69|, v48                          // 000000012C14: D1D30330 04C28B44
	v_max3_f32 v48, |v70|, |v71|, v48                          // 000000012C1C: D1D30330 04C28F46
	v_max3_f32 v48, |v72|, |v73|, v48                          // 000000012C24: D1D30330 04C29348
	v_max3_f32 v48, |v74|, |v75|, v48                          // 000000012C2C: D1D30330 04C2974A
	v_max3_f32 v48, |v76|, |v77|, v48                          // 000000012C34: D1D30330 04C29B4C
	v_max3_f32 v48, |v78|, |v79|, v48                          // 000000012C3C: D1D30330 04C29F4E
	s_nop 2                                                    // 000000012C44: BF800002
	v_rcp_f32_e32 v48, v48                                     // 000000012C48: 7E604530
	s_nop 1                                                    // 000000012C4C: BF800001
	v_mul_f32_e32 v48, 0x42fe0000, v48                         // 000000012C50: 0A6060FF 42FE0000
	v_mul_f32_e32 v144, v48, v240                              // 000000012C58: 0B21E130
	v_mul_f32_e32 v145, v48, v241                              // 000000012C5C: 0B23E330
	v_mul_f32_e32 v146, v48, v242                              // 000000012C60: 0B25E530
	v_mul_f32_e32 v147, v48, v243                              // 000000012C64: 0B27E730
	v_mul_f32_e32 v148, v48, v244                              // 000000012C68: 0B29E930
	v_mul_f32_e32 v149, v48, v245                              // 000000012C6C: 0B2BEB30
	v_mul_f32_e32 v150, v48, v246                              // 000000012C70: 0B2DED30
	v_mul_f32_e32 v151, v48, v247                              // 000000012C74: 0B2FEF30
	v_mul_f32_e32 v152, v48, v248                              // 000000012C78: 0B31F130
	v_mul_f32_e32 v153, v48, v249                              // 000000012C7C: 0B33F330
	v_mul_f32_e32 v154, v48, v250                              // 000000012C80: 0B35F530
	v_mul_f32_e32 v155, v48, v251                              // 000000012C84: 0B37F730
	v_mul_f32_e32 v156, v48, v252                              // 000000012C88: 0B39F930
	v_mul_f32_e32 v157, v48, v253                              // 000000012C8C: 0B3BFB30
	v_mul_f32_e32 v158, v48, v254                              // 000000012C90: 0B3DFD30
	v_mul_f32_e32 v159, v48, v255                              // 000000012C94: 0B3FFF30
	v_cvt_i32_f32_e32 v144, v144                               // 000000012C98: 7F201190
	v_cvt_i32_f32_e32 v145, v145                               // 000000012C9C: 7F221191
	v_cvt_i32_f32_e32 v146, v146                               // 000000012CA0: 7F241192
	v_cvt_i32_f32_e32 v147, v147                               // 000000012CA4: 7F261193
	v_cvt_i32_f32_e32 v148, v148                               // 000000012CA8: 7F281194
	v_cvt_i32_f32_e32 v149, v149                               // 000000012CAC: 7F2A1195
	v_cvt_i32_f32_e32 v150, v150                               // 000000012CB0: 7F2C1196
	v_cvt_i32_f32_e32 v151, v151                               // 000000012CB4: 7F2E1197
	v_cvt_i32_f32_e32 v152, v152                               // 000000012CB8: 7F301198
	v_cvt_i32_f32_e32 v153, v153                               // 000000012CBC: 7F321199
	v_cvt_i32_f32_e32 v154, v154                               // 000000012CC0: 7F34119A
	v_cvt_i32_f32_e32 v155, v155                               // 000000012CC4: 7F36119B
	v_cvt_i32_f32_e32 v156, v156                               // 000000012CC8: 7F38119C
	v_cvt_i32_f32_e32 v157, v157                               // 000000012CCC: 7F3A119D
	v_cvt_i32_f32_e32 v158, v158                               // 000000012CD0: 7F3C119E
	v_cvt_i32_f32_e32 v159, v159                               // 000000012CD4: 7F3E119F
	v_perm_b32 v144, v145, v144, s53                           // 000000012CD8: D1ED0090 00D72191
	v_perm_b32 v144, v146, v144, s54                           // 000000012CE0: D1ED0090 00DB2192
	v_perm_b32 v144, v147, v144, s55                           // 000000012CE8: D1ED0090 00DF2193
	v_perm_b32 v145, v149, v148, s53                           // 000000012CF0: D1ED0091 00D72995
	v_perm_b32 v145, v150, v145, s54                           // 000000012CF8: D1ED0091 00DB2396
	v_perm_b32 v145, v151, v145, s55                           // 000000012D00: D1ED0091 00DF2397
	v_perm_b32 v146, v153, v152, s53                           // 000000012D08: D1ED0092 00D73199
	v_perm_b32 v146, v154, v146, s54                           // 000000012D10: D1ED0092 00DB259A
	v_perm_b32 v146, v155, v146, s55                           // 000000012D18: D1ED0092 00DF259B
	v_perm_b32 v147, v157, v156, s53                           // 000000012D20: D1ED0093 00D7399D
	v_perm_b32 v147, v158, v147, s54                           // 000000012D28: D1ED0093 00DB279E
	v_perm_b32 v147, v159, v147, s55                           // 000000012D30: D1ED0093 00DF279F
	ds_write_b32 v10, v144 offset:33280                        // 000000012D38: D81A8200 0000900A
	ds_write_b32 v10, v145 offset:34304                        // 000000012D40: D81A8600 0000910A
	ds_write_b32 v10, v146 offset:35328                        // 000000012D48: D81A8A00 0000920A
	ds_write_b32 v10, v147 offset:36352                        // 000000012D50: D81A8E00 0000930A
	v_add_f32_e32 v224, v224, v192                             // 000000012D58: 03C181E0
	v_add_f32_e32 v225, v225, v193                             // 000000012D5C: 03C383E1
	v_add_f32_e32 v226, v226, v194                             // 000000012D60: 03C585E2
	v_add_f32_e32 v227, v227, v195                             // 000000012D64: 03C787E3
	v_add_f32_e32 v228, v228, v196                             // 000000012D68: 03C989E4
	v_add_f32_e32 v229, v229, v197                             // 000000012D6C: 03CB8BE5
	v_add_f32_e32 v230, v230, v198                             // 000000012D70: 03CD8DE6
	v_add_f32_e32 v231, v231, v199                             // 000000012D74: 03CF8FE7
	v_rcp_f32_e32 v46, v48                                     // 000000012D78: 7E5C4530
	s_waitcnt lgkmcnt(0)                                       // 000000012D7C: BF8CC07F
	s_barrier                                                  // 000000012D80: BF8A0000
	ds_read_b64 v[144:145], v9 offset:33280                    // 000000012D84: D8EC8200 90000009
	ds_read_b64 v[146:147], v9 offset:33408                    // 000000012D8C: D8EC8280 92000009
	ds_read_b64 v[148:149], v9 offset:34304                    // 000000012D94: D8EC8600 94000009
	ds_read_b64 v[150:151], v9 offset:34432                    // 000000012D9C: D8EC8680 96000009
	ds_read_b64 v[152:153], v9 offset:35328                    // 000000012DA4: D8EC8A00 98000009
	ds_read_b64 v[154:155], v9 offset:35456                    // 000000012DAC: D8EC8A80 9A000009
	ds_read_b64 v[156:157], v9 offset:36352                    // 000000012DB4: D8EC8E00 9C000009
	ds_read_b64 v[158:159], v9 offset:36480                    // 000000012DBC: D8EC8E80 9E000009
	s_waitcnt vmcnt(15)                                        // 000000012DC4: BF8C0F7F
	v_mfma_i32_16x16x32_i8 v[176:179], a[96:97], v[112:113], 0 // 000000012DC8: D3D700B0 0A02E160
	v_mfma_i32_16x16x32_i8 v[176:179], a[98:99], v[114:115], v[176:179]// 000000012DD0: D3D700B0 0EC2E562
	buffer_load_dwordx4 a[80:83], v30, s[20:23], 0 offen offset:1024// 000000012DD8: E05C1400 8085501E
	v_mfma_i32_16x16x32_i8 v[176:179], a[100:101], v[116:117], v[176:179]// 000000012DE0: D3D700B0 0EC2E964
	v_mfma_i32_16x16x32_i8 v[176:179], a[102:103], v[118:119], v[176:179]// 000000012DE8: D3D700B0 0EC2ED66
	v_mfma_i32_16x16x32_i8 v[176:179], a[104:105], v[120:121], v[176:179]// 000000012DF0: D3D700B0 0EC2F168
	v_mfma_i32_16x16x32_i8 v[176:179], a[106:107], v[122:123], v[176:179]// 000000012DF8: D3D700B0 0EC2F56A
	buffer_load_dwordx4 a[84:87], v31, s[20:23], 0 offen offset:1024// 000000012E00: E05C1400 8085541F
	v_mfma_i32_16x16x32_i8 v[176:179], a[108:109], v[124:125], v[176:179]// 000000012E08: D3D700B0 0EC2F96C
	v_mfma_i32_16x16x32_i8 v[176:179], a[110:111], v[126:127], v[176:179]// 000000012E10: D3D700B0 0EC2FD6E
	v_mfma_i32_16x16x32_i8 v[180:183], a[112:113], v[112:113], 0// 000000012E18: D3D700B4 0A02E170
	v_mfma_i32_16x16x32_i8 v[180:183], a[114:115], v[114:115], v[180:183]// 000000012E20: D3D700B4 0ED2E572
	buffer_load_dwordx4 a[88:91], v32, s[20:23], 0 offen offset:1024// 000000012E28: E05C1400 80855820
	v_mfma_i32_16x16x32_i8 v[180:183], a[116:117], v[116:117], v[180:183]// 000000012E30: D3D700B4 0ED2E974
	v_mfma_i32_16x16x32_i8 v[180:183], a[118:119], v[118:119], v[180:183]// 000000012E38: D3D700B4 0ED2ED76
	v_mfma_i32_16x16x32_i8 v[180:183], a[120:121], v[120:121], v[180:183]// 000000012E40: D3D700B4 0ED2F178
	v_mfma_i32_16x16x32_i8 v[180:183], a[122:123], v[122:123], v[180:183]// 000000012E48: D3D700B4 0ED2F57A
	buffer_load_dwordx4 a[92:95], v33, s[20:23], 0 offen offset:1024// 000000012E50: E05C1400 80855C21
	v_mfma_i32_16x16x32_i8 v[180:183], a[124:125], v[124:125], v[180:183]// 000000012E58: D3D700B4 0ED2F97C
	s_lshr_b32 s57, s70, 4                                     // 000000012E60: 8F398446
	s_add_u32 s57, 48, s57                                     // 000000012E64: 803939B0
	v_mfma_i32_16x16x32_i8 v[180:183], a[126:127], v[126:127], v[180:183]// 000000012E68: D3D700B4 0ED2FD7E
	s_cmp_ge_u32 s57, s73                                      // 000000012E70: BF094939
	s_cselect_b32 s56, 0, s56                                  // 000000012E74: 85383880
	v_mfma_i32_16x16x32_i8 v[184:187], a[96:97], v[128:129], 0 // 000000012E78: D3D700B8 0A030160
	v_mfma_i32_16x16x32_i8 v[184:187], a[98:99], v[130:131], v[184:187]// 000000012E80: D3D700B8 0EE30562
	v_mfma_i32_16x16x32_i8 v[184:187], a[100:101], v[132:133], v[184:187]// 000000012E88: D3D700B8 0EE30964
	v_mfma_i32_16x16x32_i8 v[184:187], a[102:103], v[134:135], v[184:187]// 000000012E90: D3D700B8 0EE30D66
	v_mfma_i32_16x16x32_i8 v[184:187], a[104:105], v[136:137], v[184:187]// 000000012E98: D3D700B8 0EE31168
	v_mfma_i32_16x16x32_i8 v[184:187], a[106:107], v[138:139], v[184:187]// 000000012EA0: D3D700B8 0EE3156A
	v_mfma_i32_16x16x32_i8 v[184:187], a[108:109], v[140:141], v[184:187]// 000000012EA8: D3D700B8 0EE3196C
	v_mfma_i32_16x16x32_i8 v[184:187], a[110:111], v[142:143], v[184:187]// 000000012EB0: D3D700B8 0EE31D6E
	v_mfma_i32_16x16x32_i8 v[188:191], a[112:113], v[128:129], 0// 000000012EB8: D3D700BC 0A030170
	v_mfma_i32_16x16x32_i8 v[188:191], a[114:115], v[130:131], v[188:191]// 000000012EC0: D3D700BC 0EF30572
	v_mfma_i32_16x16x32_i8 v[188:191], a[116:117], v[132:133], v[188:191]// 000000012EC8: D3D700BC 0EF30974
	v_mfma_i32_16x16x32_i8 v[188:191], a[118:119], v[134:135], v[188:191]// 000000012ED0: D3D700BC 0EF30D76
	v_mfma_i32_16x16x32_i8 v[188:191], a[120:121], v[136:137], v[188:191]// 000000012ED8: D3D700BC 0EF31178
	v_mfma_i32_16x16x32_i8 v[188:191], a[122:123], v[138:139], v[188:191]// 000000012EE0: D3D700BC 0EF3157A
	v_mfma_i32_16x16x32_i8 v[188:191], a[124:125], v[140:141], v[188:191]// 000000012EE8: D3D700BC 0EF3197C
	v_mfma_i32_16x16x32_i8 v[188:191], a[126:127], v[142:143], v[188:191]// 000000012EF0: D3D700BC 0EF31D7E
	v_mfma_i32_16x16x32_i8 v[192:195], a[96:97], v[144:145], 0 // 000000012EF8: D3D700C0 0A032160
	v_mfma_i32_16x16x32_i8 v[192:195], a[98:99], v[146:147], v[192:195]// 000000012F00: D3D700C0 0F032562
	v_mfma_i32_16x16x32_i8 v[192:195], a[100:101], v[148:149], v[192:195]// 000000012F08: D3D700C0 0F032964
	v_mfma_i32_16x16x32_i8 v[192:195], a[102:103], v[150:151], v[192:195]// 000000012F10: D3D700C0 0F032D66
	v_mfma_i32_16x16x32_i8 v[192:195], a[104:105], v[152:153], v[192:195]// 000000012F18: D3D700C0 0F033168
	v_mfma_i32_16x16x32_i8 v[192:195], a[106:107], v[154:155], v[192:195]// 000000012F20: D3D700C0 0F03356A
	v_mfma_i32_16x16x32_i8 v[192:195], a[108:109], v[156:157], v[192:195]// 000000012F28: D3D700C0 0F03396C
	v_mfma_i32_16x16x32_i8 v[192:195], a[110:111], v[158:159], v[192:195]// 000000012F30: D3D700C0 0F033D6E
	v_mfma_i32_16x16x32_i8 v[196:199], a[112:113], v[144:145], 0// 000000012F38: D3D700C4 0A032170
	v_mfma_i32_16x16x32_i8 v[196:199], a[114:115], v[146:147], v[196:199]// 000000012F40: D3D700C4 0F132572
	v_mfma_i32_16x16x32_i8 v[196:199], a[116:117], v[148:149], v[196:199]// 000000012F48: D3D700C4 0F132974
	v_mfma_i32_16x16x32_i8 v[196:199], a[118:119], v[150:151], v[196:199]// 000000012F50: D3D700C4 0F132D76
	v_mfma_i32_16x16x32_i8 v[196:199], a[120:121], v[152:153], v[196:199]// 000000012F58: D3D700C4 0F133178
	v_mfma_i32_16x16x32_i8 v[196:199], a[122:123], v[154:155], v[196:199]// 000000012F60: D3D700C4 0F13357A
	v_mfma_i32_16x16x32_i8 v[196:199], a[124:125], v[156:157], v[196:199]// 000000012F68: D3D700C4 0F13397C
	v_mfma_i32_16x16x32_i8 v[196:199], a[126:127], v[158:159], v[196:199]// 000000012F70: D3D700C4 0F133D7E
	v_add_u32_e32 v1, s56, v1                                  // 000000012F78: 68020238
	s_addk_i32 s70, 0x100                                      // 000000012F7C: B7460100
	s_cmp_lt_i32 s70, s71                                      // 000000012F80: BF044746
	s_cbranch_scc0 label_4363                                  // 000000012F84: BF840001
	s_branch label_35D6                                        // 000000012F88: BF82F273

0000000000012f8c <label_4363>:
	s_nop 0                                                    // 000000012F8C: BF800000
	s_nop 0                                                    // 000000012F90: BF800000
	s_branch label_50F3                                        // 000000012F94: BF820D8D

0000000000012f98 <label_4366>:
	s_waitcnt vmcnt(8) lgkmcnt(0)                              // 000000012F98: BF8C0078
	v_mul_u32_u24_dpp v64, v17, v54 row_newbcast:0 row_mask:0xf bank_mask:0xf// 000000012F9C: 10806CFA FF015011
	v_mul_u32_u24_dpp v65, v17, v54 row_newbcast:4 row_mask:0xf bank_mask:0xf// 000000012FA4: 10826CFA FF015411
	v_mul_u32_u24_dpp v66, v17, v54 row_newbcast:8 row_mask:0xf bank_mask:0xf// 000000012FAC: 10846CFA FF015811
	v_mul_u32_u24_dpp v67, v17, v54 row_newbcast:12 row_mask:0xf bank_mask:0xf// 000000012FB4: 10866CFA FF015C11
	v_add_u32_e32 v26, v64, v5                                 // 000000012FBC: 68340B40
	v_add_u32_e32 v27, v65, v5                                 // 000000012FC0: 68360B41
	v_add_u32_e32 v28, v66, v5                                 // 000000012FC4: 68380B42
	v_add_u32_e32 v29, v67, v5                                 // 000000012FC8: 683A0B43
	v_mul_u32_u24_dpp v64, v17, v63 quad_perm:[0,0,0,0] row_mask:0xf bank_mask:0xf// 000000012FCC: 10807EFA FF000011
	v_add_u32_e32 v3, v64, v59                                 // 000000012FD4: 68067740
	v_mul_u32_u24_dpp v64, v17, v63 quad_perm:[0,0,0,0] row_mask:0xf bank_mask:0xf// 000000012FD8: 10807EFA FF000011
	v_add_u32_e32 v56, v64, v60                                // 000000012FE0: 68707940
	v_mfma_i32_16x16x32_i8 v[112:115], a[0:1], v[80:81], 0     // 000000012FE4: D3D70070 0A02A100
	buffer_load_dwordx4 a[32:35], v26, s[16:19], 0 offen       // 000000012FEC: E05C1000 8084201A
	v_mfma_i32_16x16x32_i8 v[112:115], a[2:3], v[82:83], v[112:115]// 000000012FF4: D3D70070 0DC2A502
	v_mfma_i32_16x16x32_i8 v[112:115], a[4:5], v[84:85], v[112:115]// 000000012FFC: D3D70070 0DC2A904
	buffer_load_dword v16, v1, s[24:27], 0 offen               // 000000013004: E0501000 80061001
	v_mfma_i32_16x16x32_i8 v[112:115], a[6:7], v[86:87], v[112:115]// 00000001300C: D3D70070 0DC2AD06
	v_mfma_i32_16x16x32_i8 v[116:119], a[8:9], v[80:81], 0     // 000000013014: D3D70074 0A02A108
	buffer_load_dwordx4 a[36:39], v26, s[16:19], 0 offen offset:1024// 00000001301C: E05C1400 8084241A
	v_mfma_i32_16x16x32_i8 v[116:119], a[10:11], v[82:83], v[116:119]// 000000013024: D3D70074 0DD2A50A
	v_mfma_i32_16x16x32_i8 v[116:119], a[12:13], v[84:85], v[116:119]// 00000001302C: D3D70074 0DD2A90C
	v_mfma_i32_16x16x32_i8 v[116:119], a[14:15], v[86:87], v[116:119]// 000000013034: D3D70074 0DD2AD0E
	v_mfma_i32_16x16x32_i8 v[120:123], a[16:17], v[80:81], 0   // 00000001303C: D3D70078 0A02A110
	buffer_load_dwordx4 a[40:43], v27, s[16:19], 0 offen       // 000000013044: E05C1000 8084281B
	v_mfma_i32_16x16x32_i8 v[120:123], a[18:19], v[82:83], v[120:123]// 00000001304C: D3D70078 0DE2A512
	v_mfma_i32_16x16x32_i8 v[120:123], a[20:21], v[84:85], v[120:123]// 000000013054: D3D70078 0DE2A914
	v_mfma_i32_16x16x32_i8 v[120:123], a[22:23], v[86:87], v[120:123]// 00000001305C: D3D70078 0DE2AD16
	v_mfma_i32_16x16x32_i8 v[124:127], a[24:25], v[80:81], 0   // 000000013064: D3D7007C 0A02A118
	buffer_load_dwordx4 a[44:47], v27, s[16:19], 0 offen offset:1024// 00000001306C: E05C1400 80842C1B
	v_mfma_i32_16x16x32_i8 v[124:127], a[26:27], v[82:83], v[124:127]// 000000013074: D3D7007C 0DF2A51A
	v_mfma_i32_16x16x32_i8 v[124:127], a[28:29], v[84:85], v[124:127]// 00000001307C: D3D7007C 0DF2A91C
	v_mfma_i32_16x16x32_i8 v[124:127], a[30:31], v[86:87], v[124:127]// 000000013084: D3D7007C 0DF2AD1E
	v_mfma_i32_16x16x32_i8 v[128:131], a[0:1], v[88:89], 0     // 00000001308C: D3D70080 0A02B100
	v_mfma_i32_16x16x32_i8 v[128:131], a[2:3], v[90:91], v[128:131]// 000000013094: D3D70080 0E02B502
	v_mfma_i32_16x16x32_i8 v[128:131], a[4:5], v[92:93], v[128:131]// 00000001309C: D3D70080 0E02B904
	v_mfma_i32_16x16x32_i8 v[128:131], a[6:7], v[94:95], v[128:131]// 0000000130A4: D3D70080 0E02BD06
	v_mfma_i32_16x16x32_i8 v[132:135], a[8:9], v[88:89], 0     // 0000000130AC: D3D70084 0A02B108
	v_mfma_i32_16x16x32_i8 v[132:135], a[10:11], v[90:91], v[132:135]// 0000000130B4: D3D70084 0E12B50A
	v_mfma_i32_16x16x32_i8 v[132:135], a[12:13], v[92:93], v[132:135]// 0000000130BC: D3D70084 0E12B90C
	v_mfma_i32_16x16x32_i8 v[132:135], a[14:15], v[94:95], v[132:135]// 0000000130C4: D3D70084 0E12BD0E
	v_mfma_i32_16x16x32_i8 v[136:139], a[16:17], v[88:89], 0   // 0000000130CC: D3D70088 0A02B110
	v_mfma_i32_16x16x32_i8 v[136:139], a[18:19], v[90:91], v[136:139]// 0000000130D4: D3D70088 0E22B512
	v_mfma_i32_16x16x32_i8 v[136:139], a[20:21], v[92:93], v[136:139]// 0000000130DC: D3D70088 0E22B914
	v_mfma_i32_16x16x32_i8 v[136:139], a[22:23], v[94:95], v[136:139]// 0000000130E4: D3D70088 0E22BD16
	v_mfma_i32_16x16x32_i8 v[140:143], a[24:25], v[88:89], 0   // 0000000130EC: D3D7008C 0A02B118
	v_mfma_i32_16x16x32_i8 v[140:143], a[26:27], v[90:91], v[140:143]// 0000000130F4: D3D7008C 0E32B51A
	v_mfma_i32_16x16x32_i8 v[140:143], a[28:29], v[92:93], v[140:143]// 0000000130FC: D3D7008C 0E32B91C
	v_mfma_i32_16x16x32_i8 v[140:143], a[30:31], v[94:95], v[140:143]// 000000013104: D3D7008C 0E32BD1E
	v_mfma_i32_16x16x32_i8 v[144:147], a[0:1], v[96:97], 0     // 00000001310C: D3D70090 0A02C100
	v_mfma_i32_16x16x32_i8 v[144:147], a[2:3], v[98:99], v[144:147]// 000000013114: D3D70090 0E42C502
	v_mfma_i32_16x16x32_i8 v[144:147], a[4:5], v[100:101], v[144:147]// 00000001311C: D3D70090 0E42C904
	v_mfma_i32_16x16x32_i8 v[144:147], a[6:7], v[102:103], v[144:147]// 000000013124: D3D70090 0E42CD06
	v_mfma_i32_16x16x32_i8 v[148:151], a[8:9], v[96:97], 0     // 00000001312C: D3D70094 0A02C108
	v_mfma_i32_16x16x32_i8 v[148:151], a[10:11], v[98:99], v[148:151]// 000000013134: D3D70094 0E52C50A
	v_mfma_i32_16x16x32_i8 v[148:151], a[12:13], v[100:101], v[148:151]// 00000001313C: D3D70094 0E52C90C
	v_mfma_i32_16x16x32_i8 v[148:151], a[14:15], v[102:103], v[148:151]// 000000013144: D3D70094 0E52CD0E
	v_mfma_i32_16x16x32_i8 v[152:155], a[16:17], v[96:97], 0   // 00000001314C: D3D70098 0A02C110
	v_mfma_i32_16x16x32_i8 v[152:155], a[18:19], v[98:99], v[152:155]// 000000013154: D3D70098 0E62C512
	v_mfma_i32_16x16x32_i8 v[152:155], a[20:21], v[100:101], v[152:155]// 00000001315C: D3D70098 0E62C914
	v_mfma_i32_16x16x32_i8 v[152:155], a[22:23], v[102:103], v[152:155]// 000000013164: D3D70098 0E62CD16
	v_mfma_i32_16x16x32_i8 v[156:159], a[24:25], v[96:97], 0   // 00000001316C: D3D7009C 0A02C118
	v_mfma_i32_16x16x32_i8 v[156:159], a[26:27], v[98:99], v[156:159]// 000000013174: D3D7009C 0E72C51A
	v_mfma_i32_16x16x32_i8 v[156:159], a[28:29], v[100:101], v[156:159]// 00000001317C: D3D7009C 0E72C91C
	v_mfma_i32_16x16x32_i8 v[156:159], a[30:31], v[102:103], v[156:159]// 000000013184: D3D7009C 0E72CD1E
	buffer_load_dword v43, v3, s[32:35], 0 offen               // 00000001318C: E0501000 80082B03
	v_mov_b32_dpp v64, v42 row_shr:4 row_mask:0xf bank_mask:0xf// 000000013194: 7E8002FA FF01142A
	v_mov_b32_dpp v65, v42 row_shl:4 row_mask:0xf bank_mask:0xf// 00000001319C: 7E8202FA FF01042A
	v_cndmask_b32_e64 v248, v42, v64, s[44:45]                 // 0000000131A4: D10000F8 00B2812A
	v_cndmask_b32_e64 v249, v65, v42, s[44:45]                 // 0000000131AC: D10000F9 00B25541
	v_mov_b32_dpp v64, v248 row_shr:8 row_mask:0xf bank_mask:0xf// 0000000131B4: 7E8002FA FF0118F8
	v_mov_b32_dpp v65, v248 row_shl:8 row_mask:0xf bank_mask:0xf// 0000000131BC: 7E8202FA FF0108F8
	v_mov_b32_dpp v66, v249 row_shr:8 row_mask:0xf bank_mask:0xf// 0000000131C4: 7E8402FA FF0118F9
	v_mov_b32_dpp v67, v249 row_shl:8 row_mask:0xf bank_mask:0xf// 0000000131CC: 7E8602FA FF0108F9
	v_mov_b32_e32 v68, v248                                    // 0000000131D4: 7E8803F8
	v_mov_b32_e32 v69, v249                                    // 0000000131D8: 7E8A03F9
	v_cndmask_b32_e64 v248, v68, v64, s[42:43]                 // 0000000131DC: D10000F8 00AA8144
	v_cndmask_b32_e64 v250, v68, v65, s[78:79]                 // 0000000131E4: D10000FA 013A8344
	v_cndmask_b32_e64 v249, v69, v66, s[42:43]                 // 0000000131EC: D10000F9 00AA8545
	v_cndmask_b32_e64 v251, v69, v67, s[78:79]                 // 0000000131F4: D10000FB 013A8745
	v_mov_b32_dpp v64, v57 row_shr:4 row_mask:0xf bank_mask:0xf// 0000000131FC: 7E8002FA FF011439
	v_mov_b32_dpp v65, v57 row_shl:4 row_mask:0xf bank_mask:0xf// 000000013204: 7E8202FA FF010439
	v_cndmask_b32_e64 v252, v57, v64, s[44:45]                 // 00000001320C: D10000FC 00B28139
	v_cndmask_b32_e64 v253, v65, v57, s[44:45]                 // 000000013214: D10000FD 00B27341
	v_mov_b32_dpp v64, v252 row_shr:8 row_mask:0xf bank_mask:0xf// 00000001321C: 7E8002FA FF0118FC
	v_mov_b32_dpp v65, v252 row_shl:8 row_mask:0xf bank_mask:0xf// 000000013224: 7E8202FA FF0108FC
	v_mov_b32_dpp v66, v253 row_shr:8 row_mask:0xf bank_mask:0xf// 00000001322C: 7E8402FA FF0118FD
	v_mov_b32_dpp v67, v253 row_shl:8 row_mask:0xf bank_mask:0xf// 000000013234: 7E8602FA FF0108FD
	v_mov_b32_e32 v68, v252                                    // 00000001323C: 7E8803FC
	v_mov_b32_e32 v69, v253                                    // 000000013240: 7E8A03FD
	v_cndmask_b32_e64 v252, v68, v64, s[42:43]                 // 000000013244: D10000FC 00AA8144
	v_cndmask_b32_e64 v254, v68, v65, s[78:79]                 // 00000001324C: D10000FE 013A8344
	v_cndmask_b32_e64 v253, v69, v66, s[42:43]                 // 000000013254: D10000FD 00AA8545
	v_cndmask_b32_e64 v255, v69, v67, s[78:79]                 // 00000001325C: D10000FF 013A8745
	buffer_load_dword v58, v56, s[36:39], 0 offen              // 000000013264: E0501000 80093A38
	v_cvt_f32_i32_e32 v112, v112                               // 00000001326C: 7EE00B70
	v_cvt_f32_i32_e32 v113, v113                               // 000000013270: 7EE20B71
	v_cvt_f32_i32_e32 v114, v114                               // 000000013274: 7EE40B72
	v_cvt_f32_i32_e32 v115, v115                               // 000000013278: 7EE60B73
	v_cvt_f32_i32_e32 v116, v116                               // 00000001327C: 7EE80B74
	v_cvt_f32_i32_e32 v117, v117                               // 000000013280: 7EEA0B75
	v_cvt_f32_i32_e32 v118, v118                               // 000000013284: 7EEC0B76
	v_cvt_f32_i32_e32 v119, v119                               // 000000013288: 7EEE0B77
	v_cvt_f32_i32_e32 v120, v120                               // 00000001328C: 7EF00B78
	v_cvt_f32_i32_e32 v121, v121                               // 000000013290: 7EF20B79
	v_cvt_f32_i32_e32 v122, v122                               // 000000013294: 7EF40B7A
	v_cvt_f32_i32_e32 v123, v123                               // 000000013298: 7EF60B7B
	v_cvt_f32_i32_e32 v124, v124                               // 00000001329C: 7EF80B7C
	v_cvt_f32_i32_e32 v125, v125                               // 0000000132A0: 7EFA0B7D
	v_cvt_f32_i32_e32 v126, v126                               // 0000000132A4: 7EFC0B7E
	v_cvt_f32_i32_e32 v127, v127                               // 0000000132A8: 7EFE0B7F
	v_mul_f32_e32 v112, v18, v112                              // 0000000132AC: 0AE0E112
	v_mul_f32_e32 v113, v18, v113                              // 0000000132B0: 0AE2E312
	v_mul_f32_e32 v114, v18, v114                              // 0000000132B4: 0AE4E512
	v_mul_f32_e32 v115, v18, v115                              // 0000000132B8: 0AE6E712
	v_mul_f32_e32 v116, v18, v116                              // 0000000132BC: 0AE8E912
	v_mul_f32_e32 v117, v18, v117                              // 0000000132C0: 0AEAEB12
	v_mul_f32_e32 v118, v18, v118                              // 0000000132C4: 0AECED12
	v_mul_f32_e32 v119, v18, v119                              // 0000000132C8: 0AEEEF12
	v_mul_f32_e32 v120, v18, v120                              // 0000000132CC: 0AF0F112
	v_mul_f32_e32 v121, v18, v121                              // 0000000132D0: 0AF2F312
	v_mul_f32_e32 v122, v18, v122                              // 0000000132D4: 0AF4F512
	v_mul_f32_e32 v123, v18, v123                              // 0000000132D8: 0AF6F712
	v_mul_f32_e32 v124, v18, v124                              // 0000000132DC: 0AF8F912
	v_mul_f32_e32 v125, v18, v125                              // 0000000132E0: 0AFAFB12
	v_mul_f32_e32 v126, v18, v126                              // 0000000132E4: 0AFCFD12
	v_mul_f32_e32 v127, v18, v127                              // 0000000132E8: 0AFEFF12
	buffer_load_dwordx4 a[48:51], v28, s[16:19], 0 offen       // 0000000132EC: E05C1000 8084301C
	v_mul_f32_dpp v112, v248, v112 quad_perm:[0,0,0,0] row_mask:0xf bank_mask:0xf// 0000000132F4: 0AE0E0FA FF0000F8
	v_mul_f32_dpp v113, v248, v113 quad_perm:[1,1,1,1] row_mask:0xf bank_mask:0xf// 0000000132FC: 0AE2E2FA FF0055F8
	v_mul_f32_dpp v114, v248, v114 quad_perm:[2,2,2,2] row_mask:0xf bank_mask:0xf// 000000013304: 0AE4E4FA FF00AAF8
	v_mul_f32_dpp v115, v248, v115 quad_perm:[3,3,3,3] row_mask:0xf bank_mask:0xf// 00000001330C: 0AE6E6FA FF00FFF8
	v_mul_f32_dpp v116, v249, v116 quad_perm:[0,0,0,0] row_mask:0xf bank_mask:0xf// 000000013314: 0AE8E8FA FF0000F9
	v_mul_f32_dpp v117, v249, v117 quad_perm:[1,1,1,1] row_mask:0xf bank_mask:0xf// 00000001331C: 0AEAEAFA FF0055F9
	v_mul_f32_dpp v118, v249, v118 quad_perm:[2,2,2,2] row_mask:0xf bank_mask:0xf// 000000013324: 0AECECFA FF00AAF9
	v_mul_f32_dpp v119, v249, v119 quad_perm:[3,3,3,3] row_mask:0xf bank_mask:0xf// 00000001332C: 0AEEEEFA FF00FFF9
	v_mul_f32_dpp v120, v250, v120 quad_perm:[0,0,0,0] row_mask:0xf bank_mask:0xf// 000000013334: 0AF0F0FA FF0000FA
	v_mul_f32_dpp v121, v250, v121 quad_perm:[1,1,1,1] row_mask:0xf bank_mask:0xf// 00000001333C: 0AF2F2FA FF0055FA
	v_mul_f32_dpp v122, v250, v122 quad_perm:[2,2,2,2] row_mask:0xf bank_mask:0xf// 000000013344: 0AF4F4FA FF00AAFA
	v_mul_f32_dpp v123, v250, v123 quad_perm:[3,3,3,3] row_mask:0xf bank_mask:0xf// 00000001334C: 0AF6F6FA FF00FFFA
	v_mul_f32_dpp v124, v251, v124 quad_perm:[0,0,0,0] row_mask:0xf bank_mask:0xf// 000000013354: 0AF8F8FA FF0000FB
	v_mul_f32_dpp v125, v251, v125 quad_perm:[1,1,1,1] row_mask:0xf bank_mask:0xf// 00000001335C: 0AFAFAFA FF0055FB
	v_mul_f32_dpp v126, v251, v126 quad_perm:[2,2,2,2] row_mask:0xf bank_mask:0xf// 000000013364: 0AFCFCFA FF00AAFB
	v_mul_f32_dpp v127, v251, v127 quad_perm:[3,3,3,3] row_mask:0xf bank_mask:0xf// 00000001336C: 0AFEFEFA FF00FFFB
	buffer_load_dwordx4 a[52:55], v28, s[16:19], 0 offen offset:1024// 000000013374: E05C1400 8084341C
	v_mov_b32_e32 v48, v112                                    // 00000001337C: 7E600370
	v_max3_f32 v48, v112, v113, v48                            // 000000013380: D1D30030 04C2E370
	v_max3_f32 v48, v114, v115, v48                            // 000000013388: D1D30030 04C2E772
	v_max3_f32 v48, v116, v117, v48                            // 000000013390: D1D30030 04C2EB74
	v_max3_f32 v48, v118, v119, v48                            // 000000013398: D1D30030 04C2EF76
	v_max3_f32 v48, v120, v121, v48                            // 0000000133A0: D1D30030 04C2F378
	v_max3_f32 v48, v122, v123, v48                            // 0000000133A8: D1D30030 04C2F77A
	v_max3_f32 v48, v124, v125, v48                            // 0000000133B0: D1D30030 04C2FB7C
	v_max3_f32 v48, v126, v127, v48                            // 0000000133B8: D1D30030 04C2FF7E
	ds_write_b32 v8, v48 offset:16896                          // 0000000133C0: D81A4200 00003008
	buffer_load_dwordx4 a[56:59], v29, s[16:19], 0 offen       // 0000000133C8: E05C1000 8084381D
	v_mul_u32_u24_dpp v64, v17, v54 row_newbcast:1 row_mask:0xf bank_mask:0xf// 0000000133D0: 10806CFA FF015111
	v_mul_u32_u24_dpp v65, v17, v54 row_newbcast:5 row_mask:0xf bank_mask:0xf// 0000000133D8: 10826CFA FF015511
	v_mul_u32_u24_dpp v66, v17, v54 row_newbcast:9 row_mask:0xf bank_mask:0xf// 0000000133E0: 10846CFA FF015911
	v_mul_u32_u24_dpp v67, v17, v54 row_newbcast:13 row_mask:0xf bank_mask:0xf// 0000000133E8: 10866CFA FF015D11
	v_add_u32_e32 v34, v64, v6                                 // 0000000133F0: 68440D40
	v_add_u32_e32 v35, v65, v6                                 // 0000000133F4: 68460D41
	v_add_u32_e32 v36, v66, v6                                 // 0000000133F8: 68480D42
	v_add_u32_e32 v37, v67, v6                                 // 0000000133FC: 684A0D43
	v_mul_f32_e32 v208, v49, v208                              // 000000013400: 0BA1A131
	v_mul_f32_e32 v209, v49, v209                              // 000000013404: 0BA3A331
	v_mul_f32_e32 v210, v49, v210                              // 000000013408: 0BA5A531
	v_mul_f32_e32 v211, v49, v211                              // 00000001340C: 0BA7A731
	v_mul_f32_e32 v212, v49, v212                              // 000000013410: 0BA9A931
	v_mul_f32_e32 v213, v49, v213                              // 000000013414: 0BABAB31
	v_mul_f32_e32 v214, v49, v214                              // 000000013418: 0BADAD31
	v_mul_f32_e32 v215, v49, v215                              // 00000001341C: 0BAFAF31
	s_waitcnt lgkmcnt(0)                                       // 000000013420: BF8CC07F
	s_barrier                                                  // 000000013424: BF8A0000
	ds_read_b32 v64, v7 offset:16896                           // 000000013428: D86C4200 40000007
	ds_read_b32 v65, v7 offset:16960                           // 000000013430: D86C4240 41000007
	ds_read_b32 v66, v7 offset:17024                           // 000000013438: D86C4280 42000007
	ds_read_b32 v67, v7 offset:17088                           // 000000013440: D86C42C0 43000007
	ds_read_b32 v68, v7 offset:17152                           // 000000013448: D86C4300 44000007
	ds_read_b32 v69, v7 offset:17216                           // 000000013450: D86C4340 45000007
	ds_read_b32 v70, v7 offset:17280                           // 000000013458: D86C4380 46000007
	ds_read_b32 v71, v7 offset:17344                           // 000000013460: D86C43C0 47000007
	ds_read_b32 v72, v7 offset:17408                           // 000000013468: D86C4400 48000007
	ds_read_b32 v73, v7 offset:17472                           // 000000013470: D86C4440 49000007
	ds_read_b32 v74, v7 offset:17536                           // 000000013478: D86C4480 4A000007
	ds_read_b32 v75, v7 offset:17600                           // 000000013480: D86C44C0 4B000007
	ds_read_b32 v76, v7 offset:17664                           // 000000013488: D86C4500 4C000007
	ds_read_b32 v77, v7 offset:17728                           // 000000013490: D86C4540 4D000007
	ds_read_b32 v78, v7 offset:17792                           // 000000013498: D86C4580 4E000007
	ds_read_b32 v79, v7 offset:17856                           // 0000000134A0: D86C45C0 4F000007
	buffer_load_dwordx4 a[60:63], v29, s[16:19], 0 offen offset:1024// 0000000134A8: E05C1400 80843C1D
	v_cvt_f32_i32_e32 v176, v176                               // 0000000134B0: 7F600BB0
	v_cvt_f32_i32_e32 v177, v177                               // 0000000134B4: 7F620BB1
	v_cvt_f32_i32_e32 v178, v178                               // 0000000134B8: 7F640BB2
	v_cvt_f32_i32_e32 v179, v179                               // 0000000134BC: 7F660BB3
	v_cvt_f32_i32_e32 v180, v180                               // 0000000134C0: 7F680BB4
	v_cvt_f32_i32_e32 v181, v181                               // 0000000134C4: 7F6A0BB5
	v_cvt_f32_i32_e32 v182, v182                               // 0000000134C8: 7F6C0BB6
	v_cvt_f32_i32_e32 v183, v183                               // 0000000134CC: 7F6E0BB7
	v_mul_f32_e32 v176, v44, v176                              // 0000000134D0: 0B61612C
	v_mul_f32_e32 v177, v44, v177                              // 0000000134D4: 0B63632C
	v_mul_f32_e32 v178, v44, v178                              // 0000000134D8: 0B65652C
	v_mul_f32_e32 v179, v44, v179                              // 0000000134DC: 0B67672C
	v_mul_f32_e32 v180, v44, v180                              // 0000000134E0: 0B69692C
	v_mul_f32_e32 v181, v44, v181                              // 0000000134E4: 0B6B6B2C
	v_mul_f32_e32 v182, v44, v182                              // 0000000134E8: 0B6D6D2C
	v_mul_f32_e32 v183, v44, v183                              // 0000000134EC: 0B6F6F2C
	s_waitcnt lgkmcnt(0)                                       // 0000000134F0: BF8CC07F
	v_max3_f32 v48, v64, v65, v48                              // 0000000134F4: D1D30030 04C28340
	v_max3_f32 v48, v66, v67, v48                              // 0000000134FC: D1D30030 04C28742
	v_max3_f32 v48, v68, v69, v48                              // 000000013504: D1D30030 04C28B44
	v_max3_f32 v48, v70, v71, v48                              // 00000001350C: D1D30030 04C28F46
	v_max3_f32 v48, v72, v73, v48                              // 000000013514: D1D30030 04C29348
	v_max3_f32 v48, v74, v75, v48                              // 00000001351C: D1D30030 04C2974A
	v_max3_f32 v48, v76, v77, v48                              // 000000013524: D1D30030 04C29B4C
	v_max3_f32 v48, v78, v79, v48                              // 00000001352C: D1D30030 04C29F4E
	buffer_load_dwordx4 a[96:99], v34, s[20:23], 0 offen       // 000000013534: E05C1000 80856022
	v_mov_b32_e32 v64, 0xff800000                              // 00000001353C: 7E8002FF FF800000
	v_cmp_eq_u32_e64 s[40:41], v64, v11                        // 000000013544: D0CA0028 00021740
	s_nop 1                                                    // 00000001354C: BF800001
	v_max_f32_e32 v15, v48, v11                                // 000000013550: 161E1730
	v_mul_f32_e32 v53, s64, v15                                // 000000013554: 0A6A1E40
	v_fma_f32 v112, v112, s64, -v53                            // 000000013558: D1CB0070 84D48170
	v_fma_f32 v113, v113, s64, -v53                            // 000000013560: D1CB0071 84D48171
	v_fma_f32 v114, v114, s64, -v53                            // 000000013568: D1CB0072 84D48172
	v_fma_f32 v115, v115, s64, -v53                            // 000000013570: D1CB0073 84D48173
	v_fma_f32 v116, v116, s64, -v53                            // 000000013578: D1CB0074 84D48174
	v_fma_f32 v117, v117, s64, -v53                            // 000000013580: D1CB0075 84D48175
	v_fma_f32 v118, v118, s64, -v53                            // 000000013588: D1CB0076 84D48176
	v_fma_f32 v119, v119, s64, -v53                            // 000000013590: D1CB0077 84D48177
	v_fma_f32 v120, v120, s64, -v53                            // 000000013598: D1CB0078 84D48178
	v_fma_f32 v121, v121, s64, -v53                            // 0000000135A0: D1CB0079 84D48179
	v_fma_f32 v122, v122, s64, -v53                            // 0000000135A8: D1CB007A 84D4817A
	v_fma_f32 v123, v123, s64, -v53                            // 0000000135B0: D1CB007B 84D4817B
	v_fma_f32 v124, v124, s64, -v53                            // 0000000135B8: D1CB007C 84D4817C
	v_fma_f32 v125, v125, s64, -v53                            // 0000000135C0: D1CB007D 84D4817D
	v_fma_f32 v126, v126, s64, -v53                            // 0000000135C8: D1CB007E 84D4817E
	v_fma_f32 v127, v127, s64, -v53                            // 0000000135D0: D1CB007F 84D4817F
	buffer_load_dwordx4 a[100:103], v35, s[20:23], 0 offen     // 0000000135D8: E05C1000 80856423
	v_exp_f32_e32 v112, v112                                   // 0000000135E0: 7EE04170
	v_exp_f32_e32 v113, v113                                   // 0000000135E4: 7EE24171
	v_exp_f32_e32 v114, v114                                   // 0000000135E8: 7EE44172
	v_exp_f32_e32 v115, v115                                   // 0000000135EC: 7EE64173
	v_exp_f32_e32 v116, v116                                   // 0000000135F0: 7EE84174
	v_exp_f32_e32 v117, v117                                   // 0000000135F4: 7EEA4175
	v_exp_f32_e32 v118, v118                                   // 0000000135F8: 7EEC4176
	v_exp_f32_e32 v119, v119                                   // 0000000135FC: 7EEE4177
	v_exp_f32_e32 v120, v120                                   // 000000013600: 7EF04178
	v_exp_f32_e32 v121, v121                                   // 000000013604: 7EF24179
	v_exp_f32_e32 v122, v122                                   // 000000013608: 7EF4417A
	v_exp_f32_e32 v123, v123                                   // 00000001360C: 7EF6417B
	v_exp_f32_e32 v124, v124                                   // 000000013610: 7EF8417C
	v_exp_f32_e32 v125, v125                                   // 000000013614: 7EFA417D
	v_exp_f32_e32 v126, v126                                   // 000000013618: 7EFC417E
	v_exp_f32_e32 v127, v127                                   // 00000001361C: 7EFE417F
	buffer_load_dwordx4 a[104:107], v36, s[20:23], 0 offen     // 000000013620: E05C1000 80856824
	v_mul_f32_dpp v240, v252, v112 quad_perm:[0,0,0,0] row_mask:0xf bank_mask:0xf// 000000013628: 0BE0E0FA FF0000FC
	v_mul_f32_dpp v241, v252, v113 quad_perm:[1,1,1,1] row_mask:0xf bank_mask:0xf// 000000013630: 0BE2E2FA FF0055FC
	v_mul_f32_dpp v242, v252, v114 quad_perm:[2,2,2,2] row_mask:0xf bank_mask:0xf// 000000013638: 0BE4E4FA FF00AAFC
	v_mul_f32_dpp v243, v252, v115 quad_perm:[3,3,3,3] row_mask:0xf bank_mask:0xf// 000000013640: 0BE6E6FA FF00FFFC
	v_mul_f32_dpp v244, v253, v116 quad_perm:[0,0,0,0] row_mask:0xf bank_mask:0xf// 000000013648: 0BE8E8FA FF0000FD
	v_mul_f32_dpp v245, v253, v117 quad_perm:[1,1,1,1] row_mask:0xf bank_mask:0xf// 000000013650: 0BEAEAFA FF0055FD
	v_mul_f32_dpp v246, v253, v118 quad_perm:[2,2,2,2] row_mask:0xf bank_mask:0xf// 000000013658: 0BECECFA FF00AAFD
	v_mul_f32_dpp v247, v253, v119 quad_perm:[3,3,3,3] row_mask:0xf bank_mask:0xf// 000000013660: 0BEEEEFA FF00FFFD
	v_mul_f32_dpp v248, v254, v120 quad_perm:[0,0,0,0] row_mask:0xf bank_mask:0xf// 000000013668: 0BF0F0FA FF0000FE
	v_mul_f32_dpp v249, v254, v121 quad_perm:[1,1,1,1] row_mask:0xf bank_mask:0xf// 000000013670: 0BF2F2FA FF0055FE
	v_mul_f32_dpp v250, v254, v122 quad_perm:[2,2,2,2] row_mask:0xf bank_mask:0xf// 000000013678: 0BF4F4FA FF00AAFE
	v_mul_f32_dpp v251, v254, v123 quad_perm:[3,3,3,3] row_mask:0xf bank_mask:0xf// 000000013680: 0BF6F6FA FF00FFFE
	v_mul_f32_dpp v252, v255, v124 quad_perm:[0,0,0,0] row_mask:0xf bank_mask:0xf// 000000013688: 0BF8F8FA FF0000FF
	v_mul_f32_dpp v253, v255, v125 quad_perm:[1,1,1,1] row_mask:0xf bank_mask:0xf// 000000013690: 0BFAFAFA FF0055FF
	v_mul_f32_dpp v254, v255, v126 quad_perm:[2,2,2,2] row_mask:0xf bank_mask:0xf// 000000013698: 0BFCFCFA FF00AAFF
	v_mul_f32_dpp v255, v255, v127 quad_perm:[3,3,3,3] row_mask:0xf bank_mask:0xf// 0000000136A0: 0BFEFEFA FF00FFFF
	v_mov_b32_e32 v48, 0x358637bd                              // 0000000136A8: 7E6002FF 358637BD
	v_max3_f32 v48, |v240|, |v241|, v48                        // 0000000136B0: D1D30330 04C3E3F0
	v_max3_f32 v48, |v242|, |v243|, v48                        // 0000000136B8: D1D30330 04C3E7F2
	v_max3_f32 v48, |v244|, |v245|, v48                        // 0000000136C0: D1D30330 04C3EBF4
	v_max3_f32 v48, |v246|, |v247|, v48                        // 0000000136C8: D1D30330 04C3EFF6
	v_max3_f32 v48, |v248|, |v249|, v48                        // 0000000136D0: D1D30330 04C3F3F8
	v_max3_f32 v48, |v250|, |v251|, v48                        // 0000000136D8: D1D30330 04C3F7FA
	v_max3_f32 v48, |v252|, |v253|, v48                        // 0000000136E0: D1D30330 04C3FBFC
	v_max3_f32 v48, |v254|, |v255|, v48                        // 0000000136E8: D1D30330 04C3FFFE
	buffer_load_dwordx4 a[108:111], v37, s[20:23], 0 offen     // 0000000136F0: E05C1000 80856C25
	ds_write_b32 v8, v48 offset:20992                          // 0000000136F8: D81A5200 00003008
	v_sub_f32_e32 v49, v11, v15                                // 000000013700: 04621F0B
	v_cndmask_b32_e64 v49, v49, 0, s[40:41]                    // 000000013704: D1000031 00A10131
	v_mov_b32_e32 v11, v15                                     // 00000001370C: 7E16030F
	v_mul_f32_e32 v49, s64, v49                                // 000000013710: 0A626240
	v_exp_f32_e32 v49, v49                                     // 000000013714: 7E624131
	s_waitcnt lgkmcnt(0)                                       // 000000013718: BF8CC07F
	s_barrier                                                  // 00000001371C: BF8A0000
	ds_read_b32 v64, v7 offset:20992                           // 000000013720: D86C5200 40000007
	ds_read_b32 v65, v7 offset:21056                           // 000000013728: D86C5240 41000007
	ds_read_b32 v66, v7 offset:21120                           // 000000013730: D86C5280 42000007
	ds_read_b32 v67, v7 offset:21184                           // 000000013738: D86C52C0 43000007
	ds_read_b32 v68, v7 offset:21248                           // 000000013740: D86C5300 44000007
	ds_read_b32 v69, v7 offset:21312                           // 000000013748: D86C5340 45000007
	ds_read_b32 v70, v7 offset:21376                           // 000000013750: D86C5380 46000007
	ds_read_b32 v71, v7 offset:21440                           // 000000013758: D86C53C0 47000007
	ds_read_b32 v72, v7 offset:21504                           // 000000013760: D86C5400 48000007
	ds_read_b32 v73, v7 offset:21568                           // 000000013768: D86C5440 49000007
	ds_read_b32 v74, v7 offset:21632                           // 000000013770: D86C5480 4A000007
	ds_read_b32 v75, v7 offset:21696                           // 000000013778: D86C54C0 4B000007
	ds_read_b32 v76, v7 offset:21760                           // 000000013780: D86C5500 4C000007
	ds_read_b32 v77, v7 offset:21824                           // 000000013788: D86C5540 4D000007
	ds_read_b32 v78, v7 offset:21888                           // 000000013790: D86C5580 4E000007
	ds_read_b32 v79, v7 offset:21952                           // 000000013798: D86C55C0 4F000007
	v_mul_f32_e32 v38, v49, v38                                // 0000000137A0: 0A4C4D31
	v_mov_b32_e32 v15, v112                                    // 0000000137A4: 7E1E0370
	v_add_f32_e32 v15, v113, v15                               // 0000000137A8: 021E1F71
	v_add_f32_e32 v15, v114, v15                               // 0000000137AC: 021E1F72
	v_add_f32_e32 v15, v115, v15                               // 0000000137B0: 021E1F73
	v_add_f32_e32 v15, v116, v15                               // 0000000137B4: 021E1F74
	v_add_f32_e32 v15, v117, v15                               // 0000000137B8: 021E1F75
	v_add_f32_e32 v15, v118, v15                               // 0000000137BC: 021E1F76
	v_add_f32_e32 v15, v119, v15                               // 0000000137C0: 021E1F77
	v_add_f32_e32 v15, v120, v15                               // 0000000137C4: 021E1F78
	v_add_f32_e32 v15, v121, v15                               // 0000000137C8: 021E1F79
	v_add_f32_e32 v15, v122, v15                               // 0000000137CC: 021E1F7A
	v_add_f32_e32 v15, v123, v15                               // 0000000137D0: 021E1F7B
	v_add_f32_e32 v15, v124, v15                               // 0000000137D4: 021E1F7C
	v_add_f32_e32 v15, v125, v15                               // 0000000137D8: 021E1F7D
	v_add_f32_e32 v15, v126, v15                               // 0000000137DC: 021E1F7E
	v_add_f32_e32 v15, v127, v15                               // 0000000137E0: 021E1F7F
	v_add_f32_e32 v38, v15, v38                                // 0000000137E4: 024C4D0F
	s_waitcnt lgkmcnt(0)                                       // 0000000137E8: BF8CC07F
	v_max3_f32 v48, |v64|, |v65|, v48                          // 0000000137EC: D1D30330 04C28340
	v_max3_f32 v48, |v66|, |v67|, v48                          // 0000000137F4: D1D30330 04C28742
	v_max3_f32 v48, |v68|, |v69|, v48                          // 0000000137FC: D1D30330 04C28B44
	v_max3_f32 v48, |v70|, |v71|, v48                          // 000000013804: D1D30330 04C28F46
	v_max3_f32 v48, |v72|, |v73|, v48                          // 00000001380C: D1D30330 04C29348
	v_max3_f32 v48, |v74|, |v75|, v48                          // 000000013814: D1D30330 04C2974A
	v_max3_f32 v48, |v76|, |v77|, v48                          // 00000001381C: D1D30330 04C29B4C
	v_max3_f32 v48, |v78|, |v79|, v48                          // 000000013824: D1D30330 04C29F4E
	s_nop 2                                                    // 00000001382C: BF800002
	v_rcp_f32_e32 v48, v48                                     // 000000013830: 7E604530
	s_nop 1                                                    // 000000013834: BF800001
	v_mul_f32_e32 v48, 0x42fe0000, v48                         // 000000013838: 0A6060FF 42FE0000
	v_mul_f32_e32 v112, v48, v240                              // 000000013840: 0AE1E130
	v_mul_f32_e32 v113, v48, v241                              // 000000013844: 0AE3E330
	v_mul_f32_e32 v114, v48, v242                              // 000000013848: 0AE5E530
	v_mul_f32_e32 v115, v48, v243                              // 00000001384C: 0AE7E730
	v_mul_f32_e32 v116, v48, v244                              // 000000013850: 0AE9E930
	v_mul_f32_e32 v117, v48, v245                              // 000000013854: 0AEBEB30
	v_mul_f32_e32 v118, v48, v246                              // 000000013858: 0AEDED30
	v_mul_f32_e32 v119, v48, v247                              // 00000001385C: 0AEFEF30
	v_mul_f32_e32 v120, v48, v248                              // 000000013860: 0AF1F130
	v_mul_f32_e32 v121, v48, v249                              // 000000013864: 0AF3F330
	v_mul_f32_e32 v122, v48, v250                              // 000000013868: 0AF5F530
	v_mul_f32_e32 v123, v48, v251                              // 00000001386C: 0AF7F730
	v_mul_f32_e32 v124, v48, v252                              // 000000013870: 0AF9F930
	v_mul_f32_e32 v125, v48, v253                              // 000000013874: 0AFBFB30
	v_mul_f32_e32 v126, v48, v254                              // 000000013878: 0AFDFD30
	v_mul_f32_e32 v127, v48, v255                              // 00000001387C: 0AFFFF30
	v_cvt_i32_f32_e32 v112, v112                               // 000000013880: 7EE01170
	v_cvt_i32_f32_e32 v113, v113                               // 000000013884: 7EE21171
	v_cvt_i32_f32_e32 v114, v114                               // 000000013888: 7EE41172
	v_cvt_i32_f32_e32 v115, v115                               // 00000001388C: 7EE61173
	v_cvt_i32_f32_e32 v116, v116                               // 000000013890: 7EE81174
	v_cvt_i32_f32_e32 v117, v117                               // 000000013894: 7EEA1175
	v_cvt_i32_f32_e32 v118, v118                               // 000000013898: 7EEC1176
	v_cvt_i32_f32_e32 v119, v119                               // 00000001389C: 7EEE1177
	v_cvt_i32_f32_e32 v120, v120                               // 0000000138A0: 7EF01178
	v_cvt_i32_f32_e32 v121, v121                               // 0000000138A4: 7EF21179
	v_cvt_i32_f32_e32 v122, v122                               // 0000000138A8: 7EF4117A
	v_cvt_i32_f32_e32 v123, v123                               // 0000000138AC: 7EF6117B
	v_cvt_i32_f32_e32 v124, v124                               // 0000000138B0: 7EF8117C
	v_cvt_i32_f32_e32 v125, v125                               // 0000000138B4: 7EFA117D
	v_cvt_i32_f32_e32 v126, v126                               // 0000000138B8: 7EFC117E
	v_cvt_i32_f32_e32 v127, v127                               // 0000000138BC: 7EFE117F
	v_perm_b32 v112, v113, v112, s53                           // 0000000138C0: D1ED0070 00D6E171
	v_perm_b32 v112, v114, v112, s54                           // 0000000138C8: D1ED0070 00DAE172
	v_perm_b32 v112, v115, v112, s55                           // 0000000138D0: D1ED0070 00DEE173
	v_perm_b32 v113, v117, v116, s53                           // 0000000138D8: D1ED0071 00D6E975
	v_perm_b32 v113, v118, v113, s54                           // 0000000138E0: D1ED0071 00DAE376
	v_perm_b32 v113, v119, v113, s55                           // 0000000138E8: D1ED0071 00DEE377
	v_perm_b32 v114, v121, v120, s53                           // 0000000138F0: D1ED0072 00D6F179
	v_perm_b32 v114, v122, v114, s54                           // 0000000138F8: D1ED0072 00DAE57A
	v_perm_b32 v114, v123, v114, s55                           // 000000013900: D1ED0072 00DEE57B
	v_perm_b32 v115, v125, v124, s53                           // 000000013908: D1ED0073 00D6F97D
	v_perm_b32 v115, v126, v115, s54                           // 000000013910: D1ED0073 00DAE77E
	v_perm_b32 v115, v127, v115, s55                           // 000000013918: D1ED0073 00DEE77F
	ds_write_b32 v10, v112 offset:25088                        // 000000013920: D81A6200 0000700A
	ds_write_b32 v10, v113 offset:26112                        // 000000013928: D81A6600 0000710A
	ds_write_b32 v10, v114 offset:27136                        // 000000013930: D81A6A00 0000720A
	ds_write_b32 v10, v115 offset:28160                        // 000000013938: D81A6E00 0000730A
	v_add_f32_e32 v208, v208, v176                             // 000000013940: 03A161D0
	v_add_f32_e32 v209, v209, v177                             // 000000013944: 03A363D1
	v_add_f32_e32 v210, v210, v178                             // 000000013948: 03A565D2
	v_add_f32_e32 v211, v211, v179                             // 00000001394C: 03A767D3
	v_add_f32_e32 v212, v212, v180                             // 000000013950: 03A969D4
	v_add_f32_e32 v213, v213, v181                             // 000000013954: 03AB6BD5
	v_add_f32_e32 v214, v214, v182                             // 000000013958: 03AD6DD6
	v_add_f32_e32 v215, v215, v183                             // 00000001395C: 03AF6FD7
	v_rcp_f32_e32 v44, v48                                     // 000000013960: 7E584530
	s_waitcnt lgkmcnt(0)                                       // 000000013964: BF8CC07F
	s_barrier                                                  // 000000013968: BF8A0000
	ds_read_b64 v[112:113], v9 offset:25088                    // 00000001396C: D8EC6200 70000009
	ds_read_b64 v[114:115], v9 offset:25216                    // 000000013974: D8EC6280 72000009
	ds_read_b64 v[116:117], v9 offset:26112                    // 00000001397C: D8EC6600 74000009
	ds_read_b64 v[118:119], v9 offset:26240                    // 000000013984: D8EC6680 76000009
	ds_read_b64 v[120:121], v9 offset:27136                    // 00000001398C: D8EC6A00 78000009
	ds_read_b64 v[122:123], v9 offset:27264                    // 000000013994: D8EC6A80 7A000009
	ds_read_b64 v[124:125], v9 offset:28160                    // 00000001399C: D8EC6E00 7C000009
	ds_read_b64 v[126:127], v9 offset:28288                    // 0000000139A4: D8EC6E80 7E000009
	v_mov_b32_dpp v64, v42 row_shr:4 row_mask:0xf bank_mask:0xf// 0000000139AC: 7E8002FA FF01142A
	v_mov_b32_dpp v65, v42 row_shl:4 row_mask:0xf bank_mask:0xf// 0000000139B4: 7E8202FA FF01042A
	v_cndmask_b32_e64 v248, v42, v64, s[44:45]                 // 0000000139BC: D10000F8 00B2812A
	v_cndmask_b32_e64 v249, v65, v42, s[44:45]                 // 0000000139C4: D10000F9 00B25541
	v_mov_b32_dpp v64, v248 row_shr:8 row_mask:0xf bank_mask:0xf// 0000000139CC: 7E8002FA FF0118F8
	v_mov_b32_dpp v65, v248 row_shl:8 row_mask:0xf bank_mask:0xf// 0000000139D4: 7E8202FA FF0108F8
	v_mov_b32_dpp v66, v249 row_shr:8 row_mask:0xf bank_mask:0xf// 0000000139DC: 7E8402FA FF0118F9
	v_mov_b32_dpp v67, v249 row_shl:8 row_mask:0xf bank_mask:0xf// 0000000139E4: 7E8602FA FF0108F9
	v_mov_b32_e32 v68, v248                                    // 0000000139EC: 7E8803F8
	v_mov_b32_e32 v69, v249                                    // 0000000139F0: 7E8A03F9
	v_cndmask_b32_e64 v248, v68, v64, s[42:43]                 // 0000000139F4: D10000F8 00AA8144
	v_cndmask_b32_e64 v250, v68, v65, s[78:79]                 // 0000000139FC: D10000FA 013A8344
	v_cndmask_b32_e64 v249, v69, v66, s[42:43]                 // 000000013A04: D10000F9 00AA8545
	v_cndmask_b32_e64 v251, v69, v67, s[78:79]                 // 000000013A0C: D10000FB 013A8745
	v_mov_b32_dpp v64, v57 row_shr:4 row_mask:0xf bank_mask:0xf// 000000013A14: 7E8002FA FF011439
	v_mov_b32_dpp v65, v57 row_shl:4 row_mask:0xf bank_mask:0xf// 000000013A1C: 7E8202FA FF010439
	v_cndmask_b32_e64 v252, v57, v64, s[44:45]                 // 000000013A24: D10000FC 00B28139
	v_cndmask_b32_e64 v253, v65, v57, s[44:45]                 // 000000013A2C: D10000FD 00B27341
	v_mov_b32_dpp v64, v252 row_shr:8 row_mask:0xf bank_mask:0xf// 000000013A34: 7E8002FA FF0118FC
	v_mov_b32_dpp v65, v252 row_shl:8 row_mask:0xf bank_mask:0xf// 000000013A3C: 7E8202FA FF0108FC
	v_mov_b32_dpp v66, v253 row_shr:8 row_mask:0xf bank_mask:0xf// 000000013A44: 7E8402FA FF0118FD
	v_mov_b32_dpp v67, v253 row_shl:8 row_mask:0xf bank_mask:0xf// 000000013A4C: 7E8602FA FF0108FD
	v_mov_b32_e32 v68, v252                                    // 000000013A54: 7E8803FC
	v_mov_b32_e32 v69, v253                                    // 000000013A58: 7E8A03FD
	v_cndmask_b32_e64 v252, v68, v64, s[42:43]                 // 000000013A5C: D10000FC 00AA8144
	v_cndmask_b32_e64 v254, v68, v65, s[78:79]                 // 000000013A64: D10000FE 013A8344
	v_cndmask_b32_e64 v253, v69, v66, s[42:43]                 // 000000013A6C: D10000FD 00AA8545
	v_cndmask_b32_e64 v255, v69, v67, s[78:79]                 // 000000013A74: D10000FF 013A8745
	v_cvt_f32_i32_e32 v128, v128                               // 000000013A7C: 7F000B80
	v_cvt_f32_i32_e32 v129, v129                               // 000000013A80: 7F020B81
	v_cvt_f32_i32_e32 v130, v130                               // 000000013A84: 7F040B82
	v_cvt_f32_i32_e32 v131, v131                               // 000000013A88: 7F060B83
	v_cvt_f32_i32_e32 v132, v132                               // 000000013A8C: 7F080B84
	v_cvt_f32_i32_e32 v133, v133                               // 000000013A90: 7F0A0B85
	v_cvt_f32_i32_e32 v134, v134                               // 000000013A94: 7F0C0B86
	v_cvt_f32_i32_e32 v135, v135                               // 000000013A98: 7F0E0B87
	v_cvt_f32_i32_e32 v136, v136                               // 000000013A9C: 7F100B88
	v_cvt_f32_i32_e32 v137, v137                               // 000000013AA0: 7F120B89
	v_cvt_f32_i32_e32 v138, v138                               // 000000013AA4: 7F140B8A
	v_cvt_f32_i32_e32 v139, v139                               // 000000013AA8: 7F160B8B
	v_cvt_f32_i32_e32 v140, v140                               // 000000013AAC: 7F180B8C
	v_cvt_f32_i32_e32 v141, v141                               // 000000013AB0: 7F1A0B8D
	v_cvt_f32_i32_e32 v142, v142                               // 000000013AB4: 7F1C0B8E
	v_cvt_f32_i32_e32 v143, v143                               // 000000013AB8: 7F1E0B8F
	v_mul_f32_e32 v128, v19, v128                              // 000000013ABC: 0B010113
	v_mul_f32_e32 v129, v19, v129                              // 000000013AC0: 0B030313
	v_mul_f32_e32 v130, v19, v130                              // 000000013AC4: 0B050513
	v_mul_f32_e32 v131, v19, v131                              // 000000013AC8: 0B070713
	v_mul_f32_e32 v132, v19, v132                              // 000000013ACC: 0B090913
	v_mul_f32_e32 v133, v19, v133                              // 000000013AD0: 0B0B0B13
	v_mul_f32_e32 v134, v19, v134                              // 000000013AD4: 0B0D0D13
	v_mul_f32_e32 v135, v19, v135                              // 000000013AD8: 0B0F0F13
	v_mul_f32_e32 v136, v19, v136                              // 000000013ADC: 0B111113
	v_mul_f32_e32 v137, v19, v137                              // 000000013AE0: 0B131313
	v_mul_f32_e32 v138, v19, v138                              // 000000013AE4: 0B151513
	v_mul_f32_e32 v139, v19, v139                              // 000000013AE8: 0B171713
	v_mul_f32_e32 v140, v19, v140                              // 000000013AEC: 0B191913
	v_mul_f32_e32 v141, v19, v141                              // 000000013AF0: 0B1B1B13
	v_mul_f32_e32 v142, v19, v142                              // 000000013AF4: 0B1D1D13
	v_mul_f32_e32 v143, v19, v143                              // 000000013AF8: 0B1F1F13
	v_mul_f32_dpp v128, v248, v128 quad_perm:[0,0,0,0] row_mask:0xf bank_mask:0xf// 000000013AFC: 0B0100FA FF0000F8
	v_mul_f32_dpp v129, v248, v129 quad_perm:[1,1,1,1] row_mask:0xf bank_mask:0xf// 000000013B04: 0B0302FA FF0055F8
	v_mul_f32_dpp v130, v248, v130 quad_perm:[2,2,2,2] row_mask:0xf bank_mask:0xf// 000000013B0C: 0B0504FA FF00AAF8
	v_mul_f32_dpp v131, v248, v131 quad_perm:[3,3,3,3] row_mask:0xf bank_mask:0xf// 000000013B14: 0B0706FA FF00FFF8
	v_mul_f32_dpp v132, v249, v132 quad_perm:[0,0,0,0] row_mask:0xf bank_mask:0xf// 000000013B1C: 0B0908FA FF0000F9
	v_mul_f32_dpp v133, v249, v133 quad_perm:[1,1,1,1] row_mask:0xf bank_mask:0xf// 000000013B24: 0B0B0AFA FF0055F9
	v_mul_f32_dpp v134, v249, v134 quad_perm:[2,2,2,2] row_mask:0xf bank_mask:0xf// 000000013B2C: 0B0D0CFA FF00AAF9
	v_mul_f32_dpp v135, v249, v135 quad_perm:[3,3,3,3] row_mask:0xf bank_mask:0xf// 000000013B34: 0B0F0EFA FF00FFF9
	v_mul_f32_dpp v136, v250, v136 quad_perm:[0,0,0,0] row_mask:0xf bank_mask:0xf// 000000013B3C: 0B1110FA FF0000FA
	v_mul_f32_dpp v137, v250, v137 quad_perm:[1,1,1,1] row_mask:0xf bank_mask:0xf// 000000013B44: 0B1312FA FF0055FA
	v_mul_f32_dpp v138, v250, v138 quad_perm:[2,2,2,2] row_mask:0xf bank_mask:0xf// 000000013B4C: 0B1514FA FF00AAFA
	v_mul_f32_dpp v139, v250, v139 quad_perm:[3,3,3,3] row_mask:0xf bank_mask:0xf// 000000013B54: 0B1716FA FF00FFFA
	v_mul_f32_dpp v140, v251, v140 quad_perm:[0,0,0,0] row_mask:0xf bank_mask:0xf// 000000013B5C: 0B1918FA FF0000FB
	v_mul_f32_dpp v141, v251, v141 quad_perm:[1,1,1,1] row_mask:0xf bank_mask:0xf// 000000013B64: 0B1B1AFA FF0055FB
	v_mul_f32_dpp v142, v251, v142 quad_perm:[2,2,2,2] row_mask:0xf bank_mask:0xf// 000000013B6C: 0B1D1CFA FF00AAFB
	v_mul_f32_dpp v143, v251, v143 quad_perm:[3,3,3,3] row_mask:0xf bank_mask:0xf// 000000013B74: 0B1F1EFA FF00FFFB
	v_mov_b32_e32 v48, v128                                    // 000000013B7C: 7E600380
	v_max3_f32 v48, v128, v129, v48                            // 000000013B80: D1D30030 04C30380
	v_max3_f32 v48, v130, v131, v48                            // 000000013B88: D1D30030 04C30782
	v_max3_f32 v48, v132, v133, v48                            // 000000013B90: D1D30030 04C30B84
	v_max3_f32 v48, v134, v135, v48                            // 000000013B98: D1D30030 04C30F86
	v_max3_f32 v48, v136, v137, v48                            // 000000013BA0: D1D30030 04C31388
	v_max3_f32 v48, v138, v139, v48                            // 000000013BA8: D1D30030 04C3178A
	v_max3_f32 v48, v140, v141, v48                            // 000000013BB0: D1D30030 04C31B8C
	v_max3_f32 v48, v142, v143, v48                            // 000000013BB8: D1D30030 04C31F8E
	ds_write_b32 v8, v48 offset:16896                          // 000000013BC0: D81A4200 00003008
	v_mul_f32_e32 v216, v50, v216                              // 000000013BC8: 0BB1B132
	v_mul_f32_e32 v217, v50, v217                              // 000000013BCC: 0BB3B332
	v_mul_f32_e32 v218, v50, v218                              // 000000013BD0: 0BB5B532
	v_mul_f32_e32 v219, v50, v219                              // 000000013BD4: 0BB7B732
	v_mul_f32_e32 v220, v50, v220                              // 000000013BD8: 0BB9B932
	v_mul_f32_e32 v221, v50, v221                              // 000000013BDC: 0BBBBB32
	v_mul_f32_e32 v222, v50, v222                              // 000000013BE0: 0BBDBD32
	v_mul_f32_e32 v223, v50, v223                              // 000000013BE4: 0BBFBF32
	s_waitcnt lgkmcnt(0)                                       // 000000013BE8: BF8CC07F
	s_barrier                                                  // 000000013BEC: BF8A0000
	ds_read_b32 v64, v7 offset:16896                           // 000000013BF0: D86C4200 40000007
	ds_read_b32 v65, v7 offset:16960                           // 000000013BF8: D86C4240 41000007
	ds_read_b32 v66, v7 offset:17024                           // 000000013C00: D86C4280 42000007
	ds_read_b32 v67, v7 offset:17088                           // 000000013C08: D86C42C0 43000007
	ds_read_b32 v68, v7 offset:17152                           // 000000013C10: D86C4300 44000007
	ds_read_b32 v69, v7 offset:17216                           // 000000013C18: D86C4340 45000007
	ds_read_b32 v70, v7 offset:17280                           // 000000013C20: D86C4380 46000007
	ds_read_b32 v71, v7 offset:17344                           // 000000013C28: D86C43C0 47000007
	ds_read_b32 v72, v7 offset:17408                           // 000000013C30: D86C4400 48000007
	ds_read_b32 v73, v7 offset:17472                           // 000000013C38: D86C4440 49000007
	ds_read_b32 v74, v7 offset:17536                           // 000000013C40: D86C4480 4A000007
	ds_read_b32 v75, v7 offset:17600                           // 000000013C48: D86C44C0 4B000007
	ds_read_b32 v76, v7 offset:17664                           // 000000013C50: D86C4500 4C000007
	ds_read_b32 v77, v7 offset:17728                           // 000000013C58: D86C4540 4D000007
	ds_read_b32 v78, v7 offset:17792                           // 000000013C60: D86C4580 4E000007
	ds_read_b32 v79, v7 offset:17856                           // 000000013C68: D86C45C0 4F000007
	v_cvt_f32_i32_e32 v184, v184                               // 000000013C70: 7F700BB8
	v_cvt_f32_i32_e32 v185, v185                               // 000000013C74: 7F720BB9
	v_cvt_f32_i32_e32 v186, v186                               // 000000013C78: 7F740BBA
	v_cvt_f32_i32_e32 v187, v187                               // 000000013C7C: 7F760BBB
	v_cvt_f32_i32_e32 v188, v188                               // 000000013C80: 7F780BBC
	v_cvt_f32_i32_e32 v189, v189                               // 000000013C84: 7F7A0BBD
	v_cvt_f32_i32_e32 v190, v190                               // 000000013C88: 7F7C0BBE
	v_cvt_f32_i32_e32 v191, v191                               // 000000013C8C: 7F7E0BBF
	v_mul_f32_e32 v184, v45, v184                              // 000000013C90: 0B71712D
	v_mul_f32_e32 v185, v45, v185                              // 000000013C94: 0B73732D
	v_mul_f32_e32 v186, v45, v186                              // 000000013C98: 0B75752D
	v_mul_f32_e32 v187, v45, v187                              // 000000013C9C: 0B77772D
	v_mul_f32_e32 v188, v45, v188                              // 000000013CA0: 0B79792D
	v_mul_f32_e32 v189, v45, v189                              // 000000013CA4: 0B7B7B2D
	v_mul_f32_e32 v190, v45, v190                              // 000000013CA8: 0B7D7D2D
	v_mul_f32_e32 v191, v45, v191                              // 000000013CAC: 0B7F7F2D
	s_waitcnt lgkmcnt(0)                                       // 000000013CB0: BF8CC07F
	v_max3_f32 v48, v64, v65, v48                              // 000000013CB4: D1D30030 04C28340
	v_max3_f32 v48, v66, v67, v48                              // 000000013CBC: D1D30030 04C28742
	v_max3_f32 v48, v68, v69, v48                              // 000000013CC4: D1D30030 04C28B44
	v_max3_f32 v48, v70, v71, v48                              // 000000013CCC: D1D30030 04C28F46
	v_max3_f32 v48, v72, v73, v48                              // 000000013CD4: D1D30030 04C29348
	v_max3_f32 v48, v74, v75, v48                              // 000000013CDC: D1D30030 04C2974A
	v_max3_f32 v48, v76, v77, v48                              // 000000013CE4: D1D30030 04C29B4C
	v_max3_f32 v48, v78, v79, v48                              // 000000013CEC: D1D30030 04C29F4E
	v_mov_b32_e32 v64, 0xff800000                              // 000000013CF4: 7E8002FF FF800000
	v_cmp_eq_u32_e64 s[40:41], v64, v12                        // 000000013CFC: D0CA0028 00021940
	s_nop 1                                                    // 000000013D04: BF800001
	v_max_f32_e32 v15, v48, v12                                // 000000013D08: 161E1930
	v_mul_f32_e32 v53, s64, v15                                // 000000013D0C: 0A6A1E40
	v_fma_f32 v128, v128, s64, -v53                            // 000000013D10: D1CB0080 84D48180
	v_fma_f32 v129, v129, s64, -v53                            // 000000013D18: D1CB0081 84D48181
	v_fma_f32 v130, v130, s64, -v53                            // 000000013D20: D1CB0082 84D48182
	v_fma_f32 v131, v131, s64, -v53                            // 000000013D28: D1CB0083 84D48183
	v_fma_f32 v132, v132, s64, -v53                            // 000000013D30: D1CB0084 84D48184
	v_fma_f32 v133, v133, s64, -v53                            // 000000013D38: D1CB0085 84D48185
	v_fma_f32 v134, v134, s64, -v53                            // 000000013D40: D1CB0086 84D48186
	v_fma_f32 v135, v135, s64, -v53                            // 000000013D48: D1CB0087 84D48187
	v_fma_f32 v136, v136, s64, -v53                            // 000000013D50: D1CB0088 84D48188
	v_fma_f32 v137, v137, s64, -v53                            // 000000013D58: D1CB0089 84D48189
	v_fma_f32 v138, v138, s64, -v53                            // 000000013D60: D1CB008A 84D4818A
	v_fma_f32 v139, v139, s64, -v53                            // 000000013D68: D1CB008B 84D4818B
	v_fma_f32 v140, v140, s64, -v53                            // 000000013D70: D1CB008C 84D4818C
	v_fma_f32 v141, v141, s64, -v53                            // 000000013D78: D1CB008D 84D4818D
	v_fma_f32 v142, v142, s64, -v53                            // 000000013D80: D1CB008E 84D4818E
	v_fma_f32 v143, v143, s64, -v53                            // 000000013D88: D1CB008F 84D4818F
	v_exp_f32_e32 v128, v128                                   // 000000013D90: 7F004180
	v_exp_f32_e32 v129, v129                                   // 000000013D94: 7F024181
	v_exp_f32_e32 v130, v130                                   // 000000013D98: 7F044182
	v_exp_f32_e32 v131, v131                                   // 000000013D9C: 7F064183
	v_exp_f32_e32 v132, v132                                   // 000000013DA0: 7F084184
	v_exp_f32_e32 v133, v133                                   // 000000013DA4: 7F0A4185
	v_exp_f32_e32 v134, v134                                   // 000000013DA8: 7F0C4186
	v_exp_f32_e32 v135, v135                                   // 000000013DAC: 7F0E4187
	v_exp_f32_e32 v136, v136                                   // 000000013DB0: 7F104188
	v_exp_f32_e32 v137, v137                                   // 000000013DB4: 7F124189
	v_exp_f32_e32 v138, v138                                   // 000000013DB8: 7F14418A
	v_exp_f32_e32 v139, v139                                   // 000000013DBC: 7F16418B
	v_exp_f32_e32 v140, v140                                   // 000000013DC0: 7F18418C
	v_exp_f32_e32 v141, v141                                   // 000000013DC4: 7F1A418D
	v_exp_f32_e32 v142, v142                                   // 000000013DC8: 7F1C418E
	v_exp_f32_e32 v143, v143                                   // 000000013DCC: 7F1E418F
	v_mul_f32_dpp v240, v252, v128 quad_perm:[0,0,0,0] row_mask:0xf bank_mask:0xf// 000000013DD0: 0BE100FA FF0000FC
	v_mul_f32_dpp v241, v252, v129 quad_perm:[1,1,1,1] row_mask:0xf bank_mask:0xf// 000000013DD8: 0BE302FA FF0055FC
	v_mul_f32_dpp v242, v252, v130 quad_perm:[2,2,2,2] row_mask:0xf bank_mask:0xf// 000000013DE0: 0BE504FA FF00AAFC
	v_mul_f32_dpp v243, v252, v131 quad_perm:[3,3,3,3] row_mask:0xf bank_mask:0xf// 000000013DE8: 0BE706FA FF00FFFC
	v_mul_f32_dpp v244, v253, v132 quad_perm:[0,0,0,0] row_mask:0xf bank_mask:0xf// 000000013DF0: 0BE908FA FF0000FD
	v_mul_f32_dpp v245, v253, v133 quad_perm:[1,1,1,1] row_mask:0xf bank_mask:0xf// 000000013DF8: 0BEB0AFA FF0055FD
	v_mul_f32_dpp v246, v253, v134 quad_perm:[2,2,2,2] row_mask:0xf bank_mask:0xf// 000000013E00: 0BED0CFA FF00AAFD
	v_mul_f32_dpp v247, v253, v135 quad_perm:[3,3,3,3] row_mask:0xf bank_mask:0xf// 000000013E08: 0BEF0EFA FF00FFFD
	v_mul_f32_dpp v248, v254, v136 quad_perm:[0,0,0,0] row_mask:0xf bank_mask:0xf// 000000013E10: 0BF110FA FF0000FE
	v_mul_f32_dpp v249, v254, v137 quad_perm:[1,1,1,1] row_mask:0xf bank_mask:0xf// 000000013E18: 0BF312FA FF0055FE
	v_mul_f32_dpp v250, v254, v138 quad_perm:[2,2,2,2] row_mask:0xf bank_mask:0xf// 000000013E20: 0BF514FA FF00AAFE
	v_mul_f32_dpp v251, v254, v139 quad_perm:[3,3,3,3] row_mask:0xf bank_mask:0xf// 000000013E28: 0BF716FA FF00FFFE
	v_mul_f32_dpp v252, v255, v140 quad_perm:[0,0,0,0] row_mask:0xf bank_mask:0xf// 000000013E30: 0BF918FA FF0000FF
	v_mul_f32_dpp v253, v255, v141 quad_perm:[1,1,1,1] row_mask:0xf bank_mask:0xf// 000000013E38: 0BFB1AFA FF0055FF
	v_mul_f32_dpp v254, v255, v142 quad_perm:[2,2,2,2] row_mask:0xf bank_mask:0xf// 000000013E40: 0BFD1CFA FF00AAFF
	v_mul_f32_dpp v255, v255, v143 quad_perm:[3,3,3,3] row_mask:0xf bank_mask:0xf// 000000013E48: 0BFF1EFA FF00FFFF
	v_mov_b32_e32 v48, 0x358637bd                              // 000000013E50: 7E6002FF 358637BD
	v_max3_f32 v48, |v240|, |v241|, v48                        // 000000013E58: D1D30330 04C3E3F0
	v_max3_f32 v48, |v242|, |v243|, v48                        // 000000013E60: D1D30330 04C3E7F2
	v_max3_f32 v48, |v244|, |v245|, v48                        // 000000013E68: D1D30330 04C3EBF4
	v_max3_f32 v48, |v246|, |v247|, v48                        // 000000013E70: D1D30330 04C3EFF6
	v_max3_f32 v48, |v248|, |v249|, v48                        // 000000013E78: D1D30330 04C3F3F8
	v_max3_f32 v48, |v250|, |v251|, v48                        // 000000013E80: D1D30330 04C3F7FA
	v_max3_f32 v48, |v252|, |v253|, v48                        // 000000013E88: D1D30330 04C3FBFC
	v_max3_f32 v48, |v254|, |v255|, v48                        // 000000013E90: D1D30330 04C3FFFE
	ds_write_b32 v8, v48 offset:20992                          // 000000013E98: D81A5200 00003008
	v_sub_f32_e32 v50, v12, v15                                // 000000013EA0: 04641F0C
	v_cndmask_b32_e64 v50, v50, 0, s[40:41]                    // 000000013EA4: D1000032 00A10132
	v_mov_b32_e32 v12, v15                                     // 000000013EAC: 7E18030F
	v_mul_f32_e32 v50, s64, v50                                // 000000013EB0: 0A646440
	v_exp_f32_e32 v50, v50                                     // 000000013EB4: 7E644132
	s_waitcnt lgkmcnt(0)                                       // 000000013EB8: BF8CC07F
	s_barrier                                                  // 000000013EBC: BF8A0000
	ds_read_b32 v64, v7 offset:20992                           // 000000013EC0: D86C5200 40000007
	ds_read_b32 v65, v7 offset:21056                           // 000000013EC8: D86C5240 41000007
	ds_read_b32 v66, v7 offset:21120                           // 000000013ED0: D86C5280 42000007
	ds_read_b32 v67, v7 offset:21184                           // 000000013ED8: D86C52C0 43000007
	ds_read_b32 v68, v7 offset:21248                           // 000000013EE0: D86C5300 44000007
	ds_read_b32 v69, v7 offset:21312                           // 000000013EE8: D86C5340 45000007
	ds_read_b32 v70, v7 offset:21376                           // 000000013EF0: D86C5380 46000007
	ds_read_b32 v71, v7 offset:21440                           // 000000013EF8: D86C53C0 47000007
	ds_read_b32 v72, v7 offset:21504                           // 000000013F00: D86C5400 48000007
	ds_read_b32 v73, v7 offset:21568                           // 000000013F08: D86C5440 49000007
	ds_read_b32 v74, v7 offset:21632                           // 000000013F10: D86C5480 4A000007
	ds_read_b32 v75, v7 offset:21696                           // 000000013F18: D86C54C0 4B000007
	ds_read_b32 v76, v7 offset:21760                           // 000000013F20: D86C5500 4C000007
	ds_read_b32 v77, v7 offset:21824                           // 000000013F28: D86C5540 4D000007
	ds_read_b32 v78, v7 offset:21888                           // 000000013F30: D86C5580 4E000007
	ds_read_b32 v79, v7 offset:21952                           // 000000013F38: D86C55C0 4F000007
	v_mul_f32_e32 v39, v50, v39                                // 000000013F40: 0A4E4F32
	v_mov_b32_e32 v15, v128                                    // 000000013F44: 7E1E0380
	v_add_f32_e32 v15, v129, v15                               // 000000013F48: 021E1F81
	v_add_f32_e32 v15, v130, v15                               // 000000013F4C: 021E1F82
	v_add_f32_e32 v15, v131, v15                               // 000000013F50: 021E1F83
	v_add_f32_e32 v15, v132, v15                               // 000000013F54: 021E1F84
	v_add_f32_e32 v15, v133, v15                               // 000000013F58: 021E1F85
	v_add_f32_e32 v15, v134, v15                               // 000000013F5C: 021E1F86
	v_add_f32_e32 v15, v135, v15                               // 000000013F60: 021E1F87
	v_add_f32_e32 v15, v136, v15                               // 000000013F64: 021E1F88
	v_add_f32_e32 v15, v137, v15                               // 000000013F68: 021E1F89
	v_add_f32_e32 v15, v138, v15                               // 000000013F6C: 021E1F8A
	v_add_f32_e32 v15, v139, v15                               // 000000013F70: 021E1F8B
	v_add_f32_e32 v15, v140, v15                               // 000000013F74: 021E1F8C
	v_add_f32_e32 v15, v141, v15                               // 000000013F78: 021E1F8D
	v_add_f32_e32 v15, v142, v15                               // 000000013F7C: 021E1F8E
	v_add_f32_e32 v15, v143, v15                               // 000000013F80: 021E1F8F
	v_add_f32_e32 v39, v15, v39                                // 000000013F84: 024E4F0F
	s_waitcnt lgkmcnt(0)                                       // 000000013F88: BF8CC07F
	v_max3_f32 v48, |v64|, |v65|, v48                          // 000000013F8C: D1D30330 04C28340
	v_max3_f32 v48, |v66|, |v67|, v48                          // 000000013F94: D1D30330 04C28742
	v_max3_f32 v48, |v68|, |v69|, v48                          // 000000013F9C: D1D30330 04C28B44
	v_max3_f32 v48, |v70|, |v71|, v48                          // 000000013FA4: D1D30330 04C28F46
	v_max3_f32 v48, |v72|, |v73|, v48                          // 000000013FAC: D1D30330 04C29348
	v_max3_f32 v48, |v74|, |v75|, v48                          // 000000013FB4: D1D30330 04C2974A
	v_max3_f32 v48, |v76|, |v77|, v48                          // 000000013FBC: D1D30330 04C29B4C
	v_max3_f32 v48, |v78|, |v79|, v48                          // 000000013FC4: D1D30330 04C29F4E
	s_nop 2                                                    // 000000013FCC: BF800002
	v_rcp_f32_e32 v48, v48                                     // 000000013FD0: 7E604530
	s_nop 1                                                    // 000000013FD4: BF800001
	v_mul_f32_e32 v48, 0x42fe0000, v48                         // 000000013FD8: 0A6060FF 42FE0000
	v_mul_f32_e32 v128, v48, v240                              // 000000013FE0: 0B01E130
	v_mul_f32_e32 v129, v48, v241                              // 000000013FE4: 0B03E330
	v_mul_f32_e32 v130, v48, v242                              // 000000013FE8: 0B05E530
	v_mul_f32_e32 v131, v48, v243                              // 000000013FEC: 0B07E730
	v_mul_f32_e32 v132, v48, v244                              // 000000013FF0: 0B09E930
	v_mul_f32_e32 v133, v48, v245                              // 000000013FF4: 0B0BEB30
	v_mul_f32_e32 v134, v48, v246                              // 000000013FF8: 0B0DED30
	v_mul_f32_e32 v135, v48, v247                              // 000000013FFC: 0B0FEF30
	v_mul_f32_e32 v136, v48, v248                              // 000000014000: 0B11F130
	v_mul_f32_e32 v137, v48, v249                              // 000000014004: 0B13F330
	v_mul_f32_e32 v138, v48, v250                              // 000000014008: 0B15F530
	v_mul_f32_e32 v139, v48, v251                              // 00000001400C: 0B17F730
	v_mul_f32_e32 v140, v48, v252                              // 000000014010: 0B19F930
	v_mul_f32_e32 v141, v48, v253                              // 000000014014: 0B1BFB30
	v_mul_f32_e32 v142, v48, v254                              // 000000014018: 0B1DFD30
	v_mul_f32_e32 v143, v48, v255                              // 00000001401C: 0B1FFF30
	v_cvt_i32_f32_e32 v128, v128                               // 000000014020: 7F001180
	v_cvt_i32_f32_e32 v129, v129                               // 000000014024: 7F021181
	v_cvt_i32_f32_e32 v130, v130                               // 000000014028: 7F041182
	v_cvt_i32_f32_e32 v131, v131                               // 00000001402C: 7F061183
	v_cvt_i32_f32_e32 v132, v132                               // 000000014030: 7F081184
	v_cvt_i32_f32_e32 v133, v133                               // 000000014034: 7F0A1185
	v_cvt_i32_f32_e32 v134, v134                               // 000000014038: 7F0C1186
	v_cvt_i32_f32_e32 v135, v135                               // 00000001403C: 7F0E1187
	v_cvt_i32_f32_e32 v136, v136                               // 000000014040: 7F101188
	v_cvt_i32_f32_e32 v137, v137                               // 000000014044: 7F121189
	v_cvt_i32_f32_e32 v138, v138                               // 000000014048: 7F14118A
	v_cvt_i32_f32_e32 v139, v139                               // 00000001404C: 7F16118B
	v_cvt_i32_f32_e32 v140, v140                               // 000000014050: 7F18118C
	v_cvt_i32_f32_e32 v141, v141                               // 000000014054: 7F1A118D
	v_cvt_i32_f32_e32 v142, v142                               // 000000014058: 7F1C118E
	v_cvt_i32_f32_e32 v143, v143                               // 00000001405C: 7F1E118F
	v_perm_b32 v128, v129, v128, s53                           // 000000014060: D1ED0080 00D70181
	v_perm_b32 v128, v130, v128, s54                           // 000000014068: D1ED0080 00DB0182
	v_perm_b32 v128, v131, v128, s55                           // 000000014070: D1ED0080 00DF0183
	v_perm_b32 v129, v133, v132, s53                           // 000000014078: D1ED0081 00D70985
	v_perm_b32 v129, v134, v129, s54                           // 000000014080: D1ED0081 00DB0386
	v_perm_b32 v129, v135, v129, s55                           // 000000014088: D1ED0081 00DF0387
	v_perm_b32 v130, v137, v136, s53                           // 000000014090: D1ED0082 00D71189
	v_perm_b32 v130, v138, v130, s54                           // 000000014098: D1ED0082 00DB058A
	v_perm_b32 v130, v139, v130, s55                           // 0000000140A0: D1ED0082 00DF058B
	v_perm_b32 v131, v141, v140, s53                           // 0000000140A8: D1ED0083 00D7198D
	v_perm_b32 v131, v142, v131, s54                           // 0000000140B0: D1ED0083 00DB078E
	v_perm_b32 v131, v143, v131, s55                           // 0000000140B8: D1ED0083 00DF078F
	ds_write_b32 v10, v128 offset:29184                        // 0000000140C0: D81A7200 0000800A
	ds_write_b32 v10, v129 offset:30208                        // 0000000140C8: D81A7600 0000810A
	ds_write_b32 v10, v130 offset:31232                        // 0000000140D0: D81A7A00 0000820A
	ds_write_b32 v10, v131 offset:32256                        // 0000000140D8: D81A7E00 0000830A
	v_add_f32_e32 v216, v216, v184                             // 0000000140E0: 03B171D8
	v_add_f32_e32 v217, v217, v185                             // 0000000140E4: 03B373D9
	v_add_f32_e32 v218, v218, v186                             // 0000000140E8: 03B575DA
	v_add_f32_e32 v219, v219, v187                             // 0000000140EC: 03B777DB
	v_add_f32_e32 v220, v220, v188                             // 0000000140F0: 03B979DC
	v_add_f32_e32 v221, v221, v189                             // 0000000140F4: 03BB7BDD
	v_add_f32_e32 v222, v222, v190                             // 0000000140F8: 03BD7DDE
	v_add_f32_e32 v223, v223, v191                             // 0000000140FC: 03BF7FDF
	v_rcp_f32_e32 v45, v48                                     // 000000014100: 7E5A4530
	s_waitcnt lgkmcnt(0)                                       // 000000014104: BF8CC07F
	s_barrier                                                  // 000000014108: BF8A0000
	ds_read_b64 v[128:129], v9 offset:29184                    // 00000001410C: D8EC7200 80000009
	ds_read_b64 v[130:131], v9 offset:29312                    // 000000014114: D8EC7280 82000009
	ds_read_b64 v[132:133], v9 offset:30208                    // 00000001411C: D8EC7600 84000009
	ds_read_b64 v[134:135], v9 offset:30336                    // 000000014124: D8EC7680 86000009
	ds_read_b64 v[136:137], v9 offset:31232                    // 00000001412C: D8EC7A00 88000009
	ds_read_b64 v[138:139], v9 offset:31360                    // 000000014134: D8EC7A80 8A000009
	ds_read_b64 v[140:141], v9 offset:32256                    // 00000001413C: D8EC7E00 8C000009
	ds_read_b64 v[142:143], v9 offset:32384                    // 000000014144: D8EC7E80 8E000009
	v_mov_b32_dpp v64, v42 row_shr:4 row_mask:0xf bank_mask:0xf// 00000001414C: 7E8002FA FF01142A
	v_mov_b32_dpp v65, v42 row_shl:4 row_mask:0xf bank_mask:0xf// 000000014154: 7E8202FA FF01042A
	v_cndmask_b32_e64 v248, v42, v64, s[44:45]                 // 00000001415C: D10000F8 00B2812A
	v_cndmask_b32_e64 v249, v65, v42, s[44:45]                 // 000000014164: D10000F9 00B25541
	v_mov_b32_dpp v64, v248 row_shr:8 row_mask:0xf bank_mask:0xf// 00000001416C: 7E8002FA FF0118F8
	v_mov_b32_dpp v65, v248 row_shl:8 row_mask:0xf bank_mask:0xf// 000000014174: 7E8202FA FF0108F8
	v_mov_b32_dpp v66, v249 row_shr:8 row_mask:0xf bank_mask:0xf// 00000001417C: 7E8402FA FF0118F9
	v_mov_b32_dpp v67, v249 row_shl:8 row_mask:0xf bank_mask:0xf// 000000014184: 7E8602FA FF0108F9
	v_mov_b32_e32 v68, v248                                    // 00000001418C: 7E8803F8
	v_mov_b32_e32 v69, v249                                    // 000000014190: 7E8A03F9
	v_cndmask_b32_e64 v248, v68, v64, s[42:43]                 // 000000014194: D10000F8 00AA8144
	v_cndmask_b32_e64 v250, v68, v65, s[78:79]                 // 00000001419C: D10000FA 013A8344
	v_cndmask_b32_e64 v249, v69, v66, s[42:43]                 // 0000000141A4: D10000F9 00AA8545
	v_cndmask_b32_e64 v251, v69, v67, s[78:79]                 // 0000000141AC: D10000FB 013A8745
	v_mov_b32_dpp v64, v57 row_shr:4 row_mask:0xf bank_mask:0xf// 0000000141B4: 7E8002FA FF011439
	v_mov_b32_dpp v65, v57 row_shl:4 row_mask:0xf bank_mask:0xf// 0000000141BC: 7E8202FA FF010439
	v_cndmask_b32_e64 v252, v57, v64, s[44:45]                 // 0000000141C4: D10000FC 00B28139
	v_cndmask_b32_e64 v253, v65, v57, s[44:45]                 // 0000000141CC: D10000FD 00B27341
	v_mov_b32_dpp v64, v252 row_shr:8 row_mask:0xf bank_mask:0xf// 0000000141D4: 7E8002FA FF0118FC
	v_mov_b32_dpp v65, v252 row_shl:8 row_mask:0xf bank_mask:0xf// 0000000141DC: 7E8202FA FF0108FC
	v_mov_b32_dpp v66, v253 row_shr:8 row_mask:0xf bank_mask:0xf// 0000000141E4: 7E8402FA FF0118FD
	v_mov_b32_dpp v67, v253 row_shl:8 row_mask:0xf bank_mask:0xf// 0000000141EC: 7E8602FA FF0108FD
	v_mov_b32_e32 v68, v252                                    // 0000000141F4: 7E8803FC
	v_mov_b32_e32 v69, v253                                    // 0000000141F8: 7E8A03FD
	v_cndmask_b32_e64 v252, v68, v64, s[42:43]                 // 0000000141FC: D10000FC 00AA8144
	v_cndmask_b32_e64 v254, v68, v65, s[78:79]                 // 000000014204: D10000FE 013A8344
	v_cndmask_b32_e64 v253, v69, v66, s[42:43]                 // 00000001420C: D10000FD 00AA8545
	v_cndmask_b32_e64 v255, v69, v67, s[78:79]                 // 000000014214: D10000FF 013A8745
	v_cvt_f32_i32_e32 v144, v144                               // 00000001421C: 7F200B90
	v_cvt_f32_i32_e32 v145, v145                               // 000000014220: 7F220B91
	v_cvt_f32_i32_e32 v146, v146                               // 000000014224: 7F240B92
	v_cvt_f32_i32_e32 v147, v147                               // 000000014228: 7F260B93
	v_cvt_f32_i32_e32 v148, v148                               // 00000001422C: 7F280B94
	v_cvt_f32_i32_e32 v149, v149                               // 000000014230: 7F2A0B95
	v_cvt_f32_i32_e32 v150, v150                               // 000000014234: 7F2C0B96
	v_cvt_f32_i32_e32 v151, v151                               // 000000014238: 7F2E0B97
	v_cvt_f32_i32_e32 v152, v152                               // 00000001423C: 7F300B98
	v_cvt_f32_i32_e32 v153, v153                               // 000000014240: 7F320B99
	v_cvt_f32_i32_e32 v154, v154                               // 000000014244: 7F340B9A
	v_cvt_f32_i32_e32 v155, v155                               // 000000014248: 7F360B9B
	v_cvt_f32_i32_e32 v156, v156                               // 00000001424C: 7F380B9C
	v_cvt_f32_i32_e32 v157, v157                               // 000000014250: 7F3A0B9D
	v_cvt_f32_i32_e32 v158, v158                               // 000000014254: 7F3C0B9E
	v_cvt_f32_i32_e32 v159, v159                               // 000000014258: 7F3E0B9F
	v_mul_f32_e32 v144, v20, v144                              // 00000001425C: 0B212114
	v_mul_f32_e32 v145, v20, v145                              // 000000014260: 0B232314
	v_mul_f32_e32 v146, v20, v146                              // 000000014264: 0B252514
	v_mul_f32_e32 v147, v20, v147                              // 000000014268: 0B272714
	v_mul_f32_e32 v148, v20, v148                              // 00000001426C: 0B292914
	v_mul_f32_e32 v149, v20, v149                              // 000000014270: 0B2B2B14
	v_mul_f32_e32 v150, v20, v150                              // 000000014274: 0B2D2D14
	v_mul_f32_e32 v151, v20, v151                              // 000000014278: 0B2F2F14
	v_mul_f32_e32 v152, v20, v152                              // 00000001427C: 0B313114
	v_mul_f32_e32 v153, v20, v153                              // 000000014280: 0B333314
	v_mul_f32_e32 v154, v20, v154                              // 000000014284: 0B353514
	v_mul_f32_e32 v155, v20, v155                              // 000000014288: 0B373714
	v_mul_f32_e32 v156, v20, v156                              // 00000001428C: 0B393914
	v_mul_f32_e32 v157, v20, v157                              // 000000014290: 0B3B3B14
	v_mul_f32_e32 v158, v20, v158                              // 000000014294: 0B3D3D14
	v_mul_f32_e32 v159, v20, v159                              // 000000014298: 0B3F3F14
	v_mul_f32_dpp v144, v248, v144 quad_perm:[0,0,0,0] row_mask:0xf bank_mask:0xf// 00000001429C: 0B2120FA FF0000F8
	v_mul_f32_dpp v145, v248, v145 quad_perm:[1,1,1,1] row_mask:0xf bank_mask:0xf// 0000000142A4: 0B2322FA FF0055F8
	v_mul_f32_dpp v146, v248, v146 quad_perm:[2,2,2,2] row_mask:0xf bank_mask:0xf// 0000000142AC: 0B2524FA FF00AAF8
	v_mul_f32_dpp v147, v248, v147 quad_perm:[3,3,3,3] row_mask:0xf bank_mask:0xf// 0000000142B4: 0B2726FA FF00FFF8
	v_mul_f32_dpp v148, v249, v148 quad_perm:[0,0,0,0] row_mask:0xf bank_mask:0xf// 0000000142BC: 0B2928FA FF0000F9
	v_mul_f32_dpp v149, v249, v149 quad_perm:[1,1,1,1] row_mask:0xf bank_mask:0xf// 0000000142C4: 0B2B2AFA FF0055F9
	v_mul_f32_dpp v150, v249, v150 quad_perm:[2,2,2,2] row_mask:0xf bank_mask:0xf// 0000000142CC: 0B2D2CFA FF00AAF9
	v_mul_f32_dpp v151, v249, v151 quad_perm:[3,3,3,3] row_mask:0xf bank_mask:0xf// 0000000142D4: 0B2F2EFA FF00FFF9
	v_mul_f32_dpp v152, v250, v152 quad_perm:[0,0,0,0] row_mask:0xf bank_mask:0xf// 0000000142DC: 0B3130FA FF0000FA
	v_mul_f32_dpp v153, v250, v153 quad_perm:[1,1,1,1] row_mask:0xf bank_mask:0xf// 0000000142E4: 0B3332FA FF0055FA
	v_mul_f32_dpp v154, v250, v154 quad_perm:[2,2,2,2] row_mask:0xf bank_mask:0xf// 0000000142EC: 0B3534FA FF00AAFA
	v_mul_f32_dpp v155, v250, v155 quad_perm:[3,3,3,3] row_mask:0xf bank_mask:0xf// 0000000142F4: 0B3736FA FF00FFFA
	v_mul_f32_dpp v156, v251, v156 quad_perm:[0,0,0,0] row_mask:0xf bank_mask:0xf// 0000000142FC: 0B3938FA FF0000FB
	v_mul_f32_dpp v157, v251, v157 quad_perm:[1,1,1,1] row_mask:0xf bank_mask:0xf// 000000014304: 0B3B3AFA FF0055FB
	v_mul_f32_dpp v158, v251, v158 quad_perm:[2,2,2,2] row_mask:0xf bank_mask:0xf// 00000001430C: 0B3D3CFA FF00AAFB
	v_mul_f32_dpp v159, v251, v159 quad_perm:[3,3,3,3] row_mask:0xf bank_mask:0xf// 000000014314: 0B3F3EFA FF00FFFB
	v_mov_b32_e32 v48, v144                                    // 00000001431C: 7E600390
	v_max3_f32 v48, v144, v145, v48                            // 000000014320: D1D30030 04C32390
	v_max3_f32 v48, v146, v147, v48                            // 000000014328: D1D30030 04C32792
	v_max3_f32 v48, v148, v149, v48                            // 000000014330: D1D30030 04C32B94
	v_max3_f32 v48, v150, v151, v48                            // 000000014338: D1D30030 04C32F96
	v_max3_f32 v48, v152, v153, v48                            // 000000014340: D1D30030 04C33398
	v_max3_f32 v48, v154, v155, v48                            // 000000014348: D1D30030 04C3379A
	v_max3_f32 v48, v156, v157, v48                            // 000000014350: D1D30030 04C33B9C
	v_max3_f32 v48, v158, v159, v48                            // 000000014358: D1D30030 04C33F9E
	ds_write_b32 v8, v48 offset:16896                          // 000000014360: D81A4200 00003008
	v_mul_f32_e32 v224, v51, v224                              // 000000014368: 0BC1C133
	v_mul_f32_e32 v225, v51, v225                              // 00000001436C: 0BC3C333
	v_mul_f32_e32 v226, v51, v226                              // 000000014370: 0BC5C533
	v_mul_f32_e32 v227, v51, v227                              // 000000014374: 0BC7C733
	v_mul_f32_e32 v228, v51, v228                              // 000000014378: 0BC9C933
	v_mul_f32_e32 v229, v51, v229                              // 00000001437C: 0BCBCB33
	v_mul_f32_e32 v230, v51, v230                              // 000000014380: 0BCDCD33
	v_mul_f32_e32 v231, v51, v231                              // 000000014384: 0BCFCF33
	s_waitcnt lgkmcnt(0)                                       // 000000014388: BF8CC07F
	s_barrier                                                  // 00000001438C: BF8A0000
	ds_read_b32 v64, v7 offset:16896                           // 000000014390: D86C4200 40000007
	ds_read_b32 v65, v7 offset:16960                           // 000000014398: D86C4240 41000007
	ds_read_b32 v66, v7 offset:17024                           // 0000000143A0: D86C4280 42000007
	ds_read_b32 v67, v7 offset:17088                           // 0000000143A8: D86C42C0 43000007
	ds_read_b32 v68, v7 offset:17152                           // 0000000143B0: D86C4300 44000007
	ds_read_b32 v69, v7 offset:17216                           // 0000000143B8: D86C4340 45000007
	ds_read_b32 v70, v7 offset:17280                           // 0000000143C0: D86C4380 46000007
	ds_read_b32 v71, v7 offset:17344                           // 0000000143C8: D86C43C0 47000007
	ds_read_b32 v72, v7 offset:17408                           // 0000000143D0: D86C4400 48000007
	ds_read_b32 v73, v7 offset:17472                           // 0000000143D8: D86C4440 49000007
	ds_read_b32 v74, v7 offset:17536                           // 0000000143E0: D86C4480 4A000007
	ds_read_b32 v75, v7 offset:17600                           // 0000000143E8: D86C44C0 4B000007
	ds_read_b32 v76, v7 offset:17664                           // 0000000143F0: D86C4500 4C000007
	ds_read_b32 v77, v7 offset:17728                           // 0000000143F8: D86C4540 4D000007
	ds_read_b32 v78, v7 offset:17792                           // 000000014400: D86C4580 4E000007
	ds_read_b32 v79, v7 offset:17856                           // 000000014408: D86C45C0 4F000007
	v_cvt_f32_i32_e32 v192, v192                               // 000000014410: 7F800BC0
	v_cvt_f32_i32_e32 v193, v193                               // 000000014414: 7F820BC1
	v_cvt_f32_i32_e32 v194, v194                               // 000000014418: 7F840BC2
	v_cvt_f32_i32_e32 v195, v195                               // 00000001441C: 7F860BC3
	v_cvt_f32_i32_e32 v196, v196                               // 000000014420: 7F880BC4
	v_cvt_f32_i32_e32 v197, v197                               // 000000014424: 7F8A0BC5
	v_cvt_f32_i32_e32 v198, v198                               // 000000014428: 7F8C0BC6
	v_cvt_f32_i32_e32 v199, v199                               // 00000001442C: 7F8E0BC7
	v_mul_f32_e32 v192, v46, v192                              // 000000014430: 0B81812E
	v_mul_f32_e32 v193, v46, v193                              // 000000014434: 0B83832E
	v_mul_f32_e32 v194, v46, v194                              // 000000014438: 0B85852E
	v_mul_f32_e32 v195, v46, v195                              // 00000001443C: 0B87872E
	v_mul_f32_e32 v196, v46, v196                              // 000000014440: 0B89892E
	v_mul_f32_e32 v197, v46, v197                              // 000000014444: 0B8B8B2E
	v_mul_f32_e32 v198, v46, v198                              // 000000014448: 0B8D8D2E
	v_mul_f32_e32 v199, v46, v199                              // 00000001444C: 0B8F8F2E
	s_waitcnt lgkmcnt(0)                                       // 000000014450: BF8CC07F
	v_max3_f32 v48, v64, v65, v48                              // 000000014454: D1D30030 04C28340
	v_max3_f32 v48, v66, v67, v48                              // 00000001445C: D1D30030 04C28742
	v_max3_f32 v48, v68, v69, v48                              // 000000014464: D1D30030 04C28B44
	v_max3_f32 v48, v70, v71, v48                              // 00000001446C: D1D30030 04C28F46
	v_max3_f32 v48, v72, v73, v48                              // 000000014474: D1D30030 04C29348
	v_max3_f32 v48, v74, v75, v48                              // 00000001447C: D1D30030 04C2974A
	v_max3_f32 v48, v76, v77, v48                              // 000000014484: D1D30030 04C29B4C
	v_max3_f32 v48, v78, v79, v48                              // 00000001448C: D1D30030 04C29F4E
	v_mov_b32_e32 v64, 0xff800000                              // 000000014494: 7E8002FF FF800000
	v_cmp_eq_u32_e64 s[40:41], v64, v13                        // 00000001449C: D0CA0028 00021B40
	s_nop 1                                                    // 0000000144A4: BF800001
	v_max_f32_e32 v15, v48, v13                                // 0000000144A8: 161E1B30
	v_mul_f32_e32 v53, s64, v15                                // 0000000144AC: 0A6A1E40
	v_fma_f32 v144, v144, s64, -v53                            // 0000000144B0: D1CB0090 84D48190
	v_fma_f32 v145, v145, s64, -v53                            // 0000000144B8: D1CB0091 84D48191
	v_fma_f32 v146, v146, s64, -v53                            // 0000000144C0: D1CB0092 84D48192
	v_fma_f32 v147, v147, s64, -v53                            // 0000000144C8: D1CB0093 84D48193
	v_fma_f32 v148, v148, s64, -v53                            // 0000000144D0: D1CB0094 84D48194
	v_fma_f32 v149, v149, s64, -v53                            // 0000000144D8: D1CB0095 84D48195
	v_fma_f32 v150, v150, s64, -v53                            // 0000000144E0: D1CB0096 84D48196
	v_fma_f32 v151, v151, s64, -v53                            // 0000000144E8: D1CB0097 84D48197
	v_fma_f32 v152, v152, s64, -v53                            // 0000000144F0: D1CB0098 84D48198
	v_fma_f32 v153, v153, s64, -v53                            // 0000000144F8: D1CB0099 84D48199
	v_fma_f32 v154, v154, s64, -v53                            // 000000014500: D1CB009A 84D4819A
	v_fma_f32 v155, v155, s64, -v53                            // 000000014508: D1CB009B 84D4819B
	v_fma_f32 v156, v156, s64, -v53                            // 000000014510: D1CB009C 84D4819C
	v_fma_f32 v157, v157, s64, -v53                            // 000000014518: D1CB009D 84D4819D
	v_fma_f32 v158, v158, s64, -v53                            // 000000014520: D1CB009E 84D4819E
	v_fma_f32 v159, v159, s64, -v53                            // 000000014528: D1CB009F 84D4819F
	v_exp_f32_e32 v144, v144                                   // 000000014530: 7F204190
	v_exp_f32_e32 v145, v145                                   // 000000014534: 7F224191
	v_exp_f32_e32 v146, v146                                   // 000000014538: 7F244192
	v_exp_f32_e32 v147, v147                                   // 00000001453C: 7F264193
	v_exp_f32_e32 v148, v148                                   // 000000014540: 7F284194
	v_exp_f32_e32 v149, v149                                   // 000000014544: 7F2A4195
	v_exp_f32_e32 v150, v150                                   // 000000014548: 7F2C4196
	v_exp_f32_e32 v151, v151                                   // 00000001454C: 7F2E4197
	v_exp_f32_e32 v152, v152                                   // 000000014550: 7F304198
	v_exp_f32_e32 v153, v153                                   // 000000014554: 7F324199
	v_exp_f32_e32 v154, v154                                   // 000000014558: 7F34419A
	v_exp_f32_e32 v155, v155                                   // 00000001455C: 7F36419B
	v_exp_f32_e32 v156, v156                                   // 000000014560: 7F38419C
	v_exp_f32_e32 v157, v157                                   // 000000014564: 7F3A419D
	v_exp_f32_e32 v158, v158                                   // 000000014568: 7F3C419E
	v_exp_f32_e32 v159, v159                                   // 00000001456C: 7F3E419F
	v_mul_f32_dpp v240, v252, v144 quad_perm:[0,0,0,0] row_mask:0xf bank_mask:0xf// 000000014570: 0BE120FA FF0000FC
	v_mul_f32_dpp v241, v252, v145 quad_perm:[1,1,1,1] row_mask:0xf bank_mask:0xf// 000000014578: 0BE322FA FF0055FC
	v_mul_f32_dpp v242, v252, v146 quad_perm:[2,2,2,2] row_mask:0xf bank_mask:0xf// 000000014580: 0BE524FA FF00AAFC
	v_mul_f32_dpp v243, v252, v147 quad_perm:[3,3,3,3] row_mask:0xf bank_mask:0xf// 000000014588: 0BE726FA FF00FFFC
	v_mul_f32_dpp v244, v253, v148 quad_perm:[0,0,0,0] row_mask:0xf bank_mask:0xf// 000000014590: 0BE928FA FF0000FD
	v_mul_f32_dpp v245, v253, v149 quad_perm:[1,1,1,1] row_mask:0xf bank_mask:0xf// 000000014598: 0BEB2AFA FF0055FD
	v_mul_f32_dpp v246, v253, v150 quad_perm:[2,2,2,2] row_mask:0xf bank_mask:0xf// 0000000145A0: 0BED2CFA FF00AAFD
	v_mul_f32_dpp v247, v253, v151 quad_perm:[3,3,3,3] row_mask:0xf bank_mask:0xf// 0000000145A8: 0BEF2EFA FF00FFFD
	v_mul_f32_dpp v248, v254, v152 quad_perm:[0,0,0,0] row_mask:0xf bank_mask:0xf// 0000000145B0: 0BF130FA FF0000FE
	v_mul_f32_dpp v249, v254, v153 quad_perm:[1,1,1,1] row_mask:0xf bank_mask:0xf// 0000000145B8: 0BF332FA FF0055FE
	v_mul_f32_dpp v250, v254, v154 quad_perm:[2,2,2,2] row_mask:0xf bank_mask:0xf// 0000000145C0: 0BF534FA FF00AAFE
	v_mul_f32_dpp v251, v254, v155 quad_perm:[3,3,3,3] row_mask:0xf bank_mask:0xf// 0000000145C8: 0BF736FA FF00FFFE
	v_mul_f32_dpp v252, v255, v156 quad_perm:[0,0,0,0] row_mask:0xf bank_mask:0xf// 0000000145D0: 0BF938FA FF0000FF
	v_mul_f32_dpp v253, v255, v157 quad_perm:[1,1,1,1] row_mask:0xf bank_mask:0xf// 0000000145D8: 0BFB3AFA FF0055FF
	v_mul_f32_dpp v254, v255, v158 quad_perm:[2,2,2,2] row_mask:0xf bank_mask:0xf// 0000000145E0: 0BFD3CFA FF00AAFF
	v_mul_f32_dpp v255, v255, v159 quad_perm:[3,3,3,3] row_mask:0xf bank_mask:0xf// 0000000145E8: 0BFF3EFA FF00FFFF
	v_mov_b32_e32 v48, 0x358637bd                              // 0000000145F0: 7E6002FF 358637BD
	v_max3_f32 v48, |v240|, |v241|, v48                        // 0000000145F8: D1D30330 04C3E3F0
	v_max3_f32 v48, |v242|, |v243|, v48                        // 000000014600: D1D30330 04C3E7F2
	v_max3_f32 v48, |v244|, |v245|, v48                        // 000000014608: D1D30330 04C3EBF4
	v_max3_f32 v48, |v246|, |v247|, v48                        // 000000014610: D1D30330 04C3EFF6
	v_max3_f32 v48, |v248|, |v249|, v48                        // 000000014618: D1D30330 04C3F3F8
	v_max3_f32 v48, |v250|, |v251|, v48                        // 000000014620: D1D30330 04C3F7FA
	v_max3_f32 v48, |v252|, |v253|, v48                        // 000000014628: D1D30330 04C3FBFC
	v_max3_f32 v48, |v254|, |v255|, v48                        // 000000014630: D1D30330 04C3FFFE
	ds_write_b32 v8, v48 offset:20992                          // 000000014638: D81A5200 00003008
	v_sub_f32_e32 v51, v13, v15                                // 000000014640: 04661F0D
	v_cndmask_b32_e64 v51, v51, 0, s[40:41]                    // 000000014644: D1000033 00A10133
	v_mov_b32_e32 v13, v15                                     // 00000001464C: 7E1A030F
	v_mul_f32_e32 v51, s64, v51                                // 000000014650: 0A666640
	v_exp_f32_e32 v51, v51                                     // 000000014654: 7E664133
	s_waitcnt lgkmcnt(0)                                       // 000000014658: BF8CC07F
	s_barrier                                                  // 00000001465C: BF8A0000
	ds_read_b32 v64, v7 offset:20992                           // 000000014660: D86C5200 40000007
	ds_read_b32 v65, v7 offset:21056                           // 000000014668: D86C5240 41000007
	ds_read_b32 v66, v7 offset:21120                           // 000000014670: D86C5280 42000007
	ds_read_b32 v67, v7 offset:21184                           // 000000014678: D86C52C0 43000007
	ds_read_b32 v68, v7 offset:21248                           // 000000014680: D86C5300 44000007
	ds_read_b32 v69, v7 offset:21312                           // 000000014688: D86C5340 45000007
	ds_read_b32 v70, v7 offset:21376                           // 000000014690: D86C5380 46000007
	ds_read_b32 v71, v7 offset:21440                           // 000000014698: D86C53C0 47000007
	ds_read_b32 v72, v7 offset:21504                           // 0000000146A0: D86C5400 48000007
	ds_read_b32 v73, v7 offset:21568                           // 0000000146A8: D86C5440 49000007
	ds_read_b32 v74, v7 offset:21632                           // 0000000146B0: D86C5480 4A000007
	ds_read_b32 v75, v7 offset:21696                           // 0000000146B8: D86C54C0 4B000007
	ds_read_b32 v76, v7 offset:21760                           // 0000000146C0: D86C5500 4C000007
	ds_read_b32 v77, v7 offset:21824                           // 0000000146C8: D86C5540 4D000007
	ds_read_b32 v78, v7 offset:21888                           // 0000000146D0: D86C5580 4E000007
	ds_read_b32 v79, v7 offset:21952                           // 0000000146D8: D86C55C0 4F000007
	v_mul_f32_e32 v40, v51, v40                                // 0000000146E0: 0A505133
	v_mov_b32_e32 v15, v144                                    // 0000000146E4: 7E1E0390
	v_add_f32_e32 v15, v145, v15                               // 0000000146E8: 021E1F91
	v_add_f32_e32 v15, v146, v15                               // 0000000146EC: 021E1F92
	v_add_f32_e32 v15, v147, v15                               // 0000000146F0: 021E1F93
	v_add_f32_e32 v15, v148, v15                               // 0000000146F4: 021E1F94
	v_add_f32_e32 v15, v149, v15                               // 0000000146F8: 021E1F95
	v_add_f32_e32 v15, v150, v15                               // 0000000146FC: 021E1F96
	v_add_f32_e32 v15, v151, v15                               // 000000014700: 021E1F97
	v_add_f32_e32 v15, v152, v15                               // 000000014704: 021E1F98
	v_add_f32_e32 v15, v153, v15                               // 000000014708: 021E1F99
	v_add_f32_e32 v15, v154, v15                               // 00000001470C: 021E1F9A
	v_add_f32_e32 v15, v155, v15                               // 000000014710: 021E1F9B
	v_add_f32_e32 v15, v156, v15                               // 000000014714: 021E1F9C
	v_add_f32_e32 v15, v157, v15                               // 000000014718: 021E1F9D
	v_add_f32_e32 v15, v158, v15                               // 00000001471C: 021E1F9E
	v_add_f32_e32 v15, v159, v15                               // 000000014720: 021E1F9F
	v_add_f32_e32 v40, v15, v40                                // 000000014724: 0250510F
	s_waitcnt lgkmcnt(0)                                       // 000000014728: BF8CC07F
	v_max3_f32 v48, |v64|, |v65|, v48                          // 00000001472C: D1D30330 04C28340
	v_max3_f32 v48, |v66|, |v67|, v48                          // 000000014734: D1D30330 04C28742
	v_max3_f32 v48, |v68|, |v69|, v48                          // 00000001473C: D1D30330 04C28B44
	v_max3_f32 v48, |v70|, |v71|, v48                          // 000000014744: D1D30330 04C28F46
	v_max3_f32 v48, |v72|, |v73|, v48                          // 00000001474C: D1D30330 04C29348
	v_max3_f32 v48, |v74|, |v75|, v48                          // 000000014754: D1D30330 04C2974A
	v_max3_f32 v48, |v76|, |v77|, v48                          // 00000001475C: D1D30330 04C29B4C
	v_max3_f32 v48, |v78|, |v79|, v48                          // 000000014764: D1D30330 04C29F4E
	s_nop 2                                                    // 00000001476C: BF800002
	v_rcp_f32_e32 v48, v48                                     // 000000014770: 7E604530
	s_nop 1                                                    // 000000014774: BF800001
	v_mul_f32_e32 v48, 0x42fe0000, v48                         // 000000014778: 0A6060FF 42FE0000
	v_mul_f32_e32 v144, v48, v240                              // 000000014780: 0B21E130
	v_mul_f32_e32 v145, v48, v241                              // 000000014784: 0B23E330
	v_mul_f32_e32 v146, v48, v242                              // 000000014788: 0B25E530
	v_mul_f32_e32 v147, v48, v243                              // 00000001478C: 0B27E730
	v_mul_f32_e32 v148, v48, v244                              // 000000014790: 0B29E930
	v_mul_f32_e32 v149, v48, v245                              // 000000014794: 0B2BEB30
	v_mul_f32_e32 v150, v48, v246                              // 000000014798: 0B2DED30
	v_mul_f32_e32 v151, v48, v247                              // 00000001479C: 0B2FEF30
	v_mul_f32_e32 v152, v48, v248                              // 0000000147A0: 0B31F130
	v_mul_f32_e32 v153, v48, v249                              // 0000000147A4: 0B33F330
	v_mul_f32_e32 v154, v48, v250                              // 0000000147A8: 0B35F530
	v_mul_f32_e32 v155, v48, v251                              // 0000000147AC: 0B37F730
	v_mul_f32_e32 v156, v48, v252                              // 0000000147B0: 0B39F930
	v_mul_f32_e32 v157, v48, v253                              // 0000000147B4: 0B3BFB30
	v_mul_f32_e32 v158, v48, v254                              // 0000000147B8: 0B3DFD30
	v_mul_f32_e32 v159, v48, v255                              // 0000000147BC: 0B3FFF30
	v_cvt_i32_f32_e32 v144, v144                               // 0000000147C0: 7F201190
	v_cvt_i32_f32_e32 v145, v145                               // 0000000147C4: 7F221191
	v_cvt_i32_f32_e32 v146, v146                               // 0000000147C8: 7F241192
	v_cvt_i32_f32_e32 v147, v147                               // 0000000147CC: 7F261193
	v_cvt_i32_f32_e32 v148, v148                               // 0000000147D0: 7F281194
	v_cvt_i32_f32_e32 v149, v149                               // 0000000147D4: 7F2A1195
	v_cvt_i32_f32_e32 v150, v150                               // 0000000147D8: 7F2C1196
	v_cvt_i32_f32_e32 v151, v151                               // 0000000147DC: 7F2E1197
	v_cvt_i32_f32_e32 v152, v152                               // 0000000147E0: 7F301198
	v_cvt_i32_f32_e32 v153, v153                               // 0000000147E4: 7F321199
	v_cvt_i32_f32_e32 v154, v154                               // 0000000147E8: 7F34119A
	v_cvt_i32_f32_e32 v155, v155                               // 0000000147EC: 7F36119B
	v_cvt_i32_f32_e32 v156, v156                               // 0000000147F0: 7F38119C
	v_cvt_i32_f32_e32 v157, v157                               // 0000000147F4: 7F3A119D
	v_cvt_i32_f32_e32 v158, v158                               // 0000000147F8: 7F3C119E
	v_cvt_i32_f32_e32 v159, v159                               // 0000000147FC: 7F3E119F
	v_perm_b32 v144, v145, v144, s53                           // 000000014800: D1ED0090 00D72191
	v_perm_b32 v144, v146, v144, s54                           // 000000014808: D1ED0090 00DB2192
	v_perm_b32 v144, v147, v144, s55                           // 000000014810: D1ED0090 00DF2193
	v_perm_b32 v145, v149, v148, s53                           // 000000014818: D1ED0091 00D72995
	v_perm_b32 v145, v150, v145, s54                           // 000000014820: D1ED0091 00DB2396
	v_perm_b32 v145, v151, v145, s55                           // 000000014828: D1ED0091 00DF2397
	v_perm_b32 v146, v153, v152, s53                           // 000000014830: D1ED0092 00D73199
	v_perm_b32 v146, v154, v146, s54                           // 000000014838: D1ED0092 00DB259A
	v_perm_b32 v146, v155, v146, s55                           // 000000014840: D1ED0092 00DF259B
	v_perm_b32 v147, v157, v156, s53                           // 000000014848: D1ED0093 00D7399D
	v_perm_b32 v147, v158, v147, s54                           // 000000014850: D1ED0093 00DB279E
	v_perm_b32 v147, v159, v147, s55                           // 000000014858: D1ED0093 00DF279F
	ds_write_b32 v10, v144 offset:33280                        // 000000014860: D81A8200 0000900A
	ds_write_b32 v10, v145 offset:34304                        // 000000014868: D81A8600 0000910A
	ds_write_b32 v10, v146 offset:35328                        // 000000014870: D81A8A00 0000920A
	ds_write_b32 v10, v147 offset:36352                        // 000000014878: D81A8E00 0000930A
	v_add_f32_e32 v224, v224, v192                             // 000000014880: 03C181E0
	v_add_f32_e32 v225, v225, v193                             // 000000014884: 03C383E1
	v_add_f32_e32 v226, v226, v194                             // 000000014888: 03C585E2
	v_add_f32_e32 v227, v227, v195                             // 00000001488C: 03C787E3
	v_add_f32_e32 v228, v228, v196                             // 000000014890: 03C989E4
	v_add_f32_e32 v229, v229, v197                             // 000000014894: 03CB8BE5
	v_add_f32_e32 v230, v230, v198                             // 000000014898: 03CD8DE6
	v_add_f32_e32 v231, v231, v199                             // 00000001489C: 03CF8FE7
	v_rcp_f32_e32 v46, v48                                     // 0000000148A0: 7E5C4530
	s_waitcnt lgkmcnt(0)                                       // 0000000148A4: BF8CC07F
	s_barrier                                                  // 0000000148A8: BF8A0000
	ds_read_b64 v[144:145], v9 offset:33280                    // 0000000148AC: D8EC8200 90000009
	ds_read_b64 v[146:147], v9 offset:33408                    // 0000000148B4: D8EC8280 92000009
	ds_read_b64 v[148:149], v9 offset:34304                    // 0000000148BC: D8EC8600 94000009
	ds_read_b64 v[150:151], v9 offset:34432                    // 0000000148C4: D8EC8680 96000009
	ds_read_b64 v[152:153], v9 offset:35328                    // 0000000148CC: D8EC8A00 98000009
	ds_read_b64 v[154:155], v9 offset:35456                    // 0000000148D4: D8EC8A80 9A000009
	ds_read_b64 v[156:157], v9 offset:36352                    // 0000000148DC: D8EC8E00 9C000009
	ds_read_b64 v[158:159], v9 offset:36480                    // 0000000148E4: D8EC8E80 9E000009
	s_waitcnt vmcnt(15)                                        // 0000000148EC: BF8C0F7F
	v_mfma_i32_16x16x32_i8 v[176:179], a[64:65], v[112:113], 0 // 0000000148F0: D3D700B0 0A02E140
	buffer_load_dwordx4 a[112:115], v34, s[20:23], 0 offen offset:1024// 0000000148F8: E05C1400 80857022
	v_mfma_i32_16x16x32_i8 v[176:179], a[66:67], v[114:115], v[176:179]// 000000014900: D3D700B0 0EC2E542
	v_mfma_i32_16x16x32_i8 v[176:179], a[68:69], v[116:117], v[176:179]// 000000014908: D3D700B0 0EC2E944
	v_mfma_i32_16x16x32_i8 v[176:179], a[70:71], v[118:119], v[176:179]// 000000014910: D3D700B0 0EC2ED46
	v_mfma_i32_16x16x32_i8 v[176:179], a[72:73], v[120:121], v[176:179]// 000000014918: D3D700B0 0EC2F148
	buffer_load_dwordx4 a[116:119], v35, s[20:23], 0 offen offset:1024// 000000014920: E05C1400 80857423
	v_mfma_i32_16x16x32_i8 v[176:179], a[74:75], v[122:123], v[176:179]// 000000014928: D3D700B0 0EC2F54A
	v_mfma_i32_16x16x32_i8 v[176:179], a[76:77], v[124:125], v[176:179]// 000000014930: D3D700B0 0EC2F94C
	v_mfma_i32_16x16x32_i8 v[176:179], a[78:79], v[126:127], v[176:179]// 000000014938: D3D700B0 0EC2FD4E
	v_mfma_i32_16x16x32_i8 v[180:183], a[80:81], v[112:113], 0 // 000000014940: D3D700B4 0A02E150
	buffer_load_dwordx4 a[120:123], v36, s[20:23], 0 offen offset:1024// 000000014948: E05C1400 80857824
	v_mfma_i32_16x16x32_i8 v[180:183], a[82:83], v[114:115], v[180:183]// 000000014950: D3D700B4 0ED2E552
	v_mfma_i32_16x16x32_i8 v[180:183], a[84:85], v[116:117], v[180:183]// 000000014958: D3D700B4 0ED2E954
	v_mfma_i32_16x16x32_i8 v[180:183], a[86:87], v[118:119], v[180:183]// 000000014960: D3D700B4 0ED2ED56
	v_mfma_i32_16x16x32_i8 v[180:183], a[88:89], v[120:121], v[180:183]// 000000014968: D3D700B4 0ED2F158
	buffer_load_dwordx4 a[124:127], v37, s[20:23], 0 offen offset:1024// 000000014970: E05C1400 80857C25
	v_mfma_i32_16x16x32_i8 v[180:183], a[90:91], v[122:123], v[180:183]// 000000014978: D3D700B4 0ED2F55A
	v_mfma_i32_16x16x32_i8 v[180:183], a[92:93], v[124:125], v[180:183]// 000000014980: D3D700B4 0ED2F95C
	s_lshr_b32 s57, s70, 4                                     // 000000014988: 8F398446
	s_add_u32 s57, 48, s57                                     // 00000001498C: 803939B0
	v_mfma_i32_16x16x32_i8 v[180:183], a[94:95], v[126:127], v[180:183]// 000000014990: D3D700B4 0ED2FD5E
	s_cmp_ge_u32 s57, s73                                      // 000000014998: BF094939
	s_cselect_b32 s56, 0, s56                                  // 00000001499C: 85383880
	v_mfma_i32_16x16x32_i8 v[184:187], a[64:65], v[128:129], 0 // 0000000149A0: D3D700B8 0A030140
	v_mfma_i32_16x16x32_i8 v[184:187], a[66:67], v[130:131], v[184:187]// 0000000149A8: D3D700B8 0EE30542
	v_mfma_i32_16x16x32_i8 v[184:187], a[68:69], v[132:133], v[184:187]// 0000000149B0: D3D700B8 0EE30944
	v_mfma_i32_16x16x32_i8 v[184:187], a[70:71], v[134:135], v[184:187]// 0000000149B8: D3D700B8 0EE30D46
	v_mfma_i32_16x16x32_i8 v[184:187], a[72:73], v[136:137], v[184:187]// 0000000149C0: D3D700B8 0EE31148
	v_mfma_i32_16x16x32_i8 v[184:187], a[74:75], v[138:139], v[184:187]// 0000000149C8: D3D700B8 0EE3154A
	v_mfma_i32_16x16x32_i8 v[184:187], a[76:77], v[140:141], v[184:187]// 0000000149D0: D3D700B8 0EE3194C
	v_mfma_i32_16x16x32_i8 v[184:187], a[78:79], v[142:143], v[184:187]// 0000000149D8: D3D700B8 0EE31D4E
	v_mfma_i32_16x16x32_i8 v[188:191], a[80:81], v[128:129], 0 // 0000000149E0: D3D700BC 0A030150
	v_mfma_i32_16x16x32_i8 v[188:191], a[82:83], v[130:131], v[188:191]// 0000000149E8: D3D700BC 0EF30552
	v_mfma_i32_16x16x32_i8 v[188:191], a[84:85], v[132:133], v[188:191]// 0000000149F0: D3D700BC 0EF30954
	v_mfma_i32_16x16x32_i8 v[188:191], a[86:87], v[134:135], v[188:191]// 0000000149F8: D3D700BC 0EF30D56
	v_mfma_i32_16x16x32_i8 v[188:191], a[88:89], v[136:137], v[188:191]// 000000014A00: D3D700BC 0EF31158
	v_mfma_i32_16x16x32_i8 v[188:191], a[90:91], v[138:139], v[188:191]// 000000014A08: D3D700BC 0EF3155A
	v_mfma_i32_16x16x32_i8 v[188:191], a[92:93], v[140:141], v[188:191]// 000000014A10: D3D700BC 0EF3195C
	v_mfma_i32_16x16x32_i8 v[188:191], a[94:95], v[142:143], v[188:191]// 000000014A18: D3D700BC 0EF31D5E
	v_mfma_i32_16x16x32_i8 v[192:195], a[64:65], v[144:145], 0 // 000000014A20: D3D700C0 0A032140
	v_mfma_i32_16x16x32_i8 v[192:195], a[66:67], v[146:147], v[192:195]// 000000014A28: D3D700C0 0F032542
	v_mfma_i32_16x16x32_i8 v[192:195], a[68:69], v[148:149], v[192:195]// 000000014A30: D3D700C0 0F032944
	v_mfma_i32_16x16x32_i8 v[192:195], a[70:71], v[150:151], v[192:195]// 000000014A38: D3D700C0 0F032D46
	v_mfma_i32_16x16x32_i8 v[192:195], a[72:73], v[152:153], v[192:195]// 000000014A40: D3D700C0 0F033148
	v_mfma_i32_16x16x32_i8 v[192:195], a[74:75], v[154:155], v[192:195]// 000000014A48: D3D700C0 0F03354A
	v_mfma_i32_16x16x32_i8 v[192:195], a[76:77], v[156:157], v[192:195]// 000000014A50: D3D700C0 0F03394C
	v_mfma_i32_16x16x32_i8 v[192:195], a[78:79], v[158:159], v[192:195]// 000000014A58: D3D700C0 0F033D4E
	v_mfma_i32_16x16x32_i8 v[196:199], a[80:81], v[144:145], 0 // 000000014A60: D3D700C4 0A032150
	v_mfma_i32_16x16x32_i8 v[196:199], a[82:83], v[146:147], v[196:199]// 000000014A68: D3D700C4 0F132552
	v_mfma_i32_16x16x32_i8 v[196:199], a[84:85], v[148:149], v[196:199]// 000000014A70: D3D700C4 0F132954
	v_mfma_i32_16x16x32_i8 v[196:199], a[86:87], v[150:151], v[196:199]// 000000014A78: D3D700C4 0F132D56
	v_mfma_i32_16x16x32_i8 v[196:199], a[88:89], v[152:153], v[196:199]// 000000014A80: D3D700C4 0F133158
	v_mfma_i32_16x16x32_i8 v[196:199], a[90:91], v[154:155], v[196:199]// 000000014A88: D3D700C4 0F13355A
	v_mfma_i32_16x16x32_i8 v[196:199], a[92:93], v[156:157], v[196:199]// 000000014A90: D3D700C4 0F13395C
	v_mfma_i32_16x16x32_i8 v[196:199], a[94:95], v[158:159], v[196:199]// 000000014A98: D3D700C4 0F133D5E
	v_add_u32_e32 v1, s56, v1                                  // 000000014AA0: 68020238
	s_addk_i32 s70, 0x100                                      // 000000014AA4: B7460100
	s_cmp_lt_i32 s70, s71                                      // 000000014AA8: BF044746
	s_cbranch_scc0 label_4363                                  // 000000014AAC: BF84F937
	s_waitcnt vmcnt(8) lgkmcnt(0)                              // 000000014AB0: BF8C0078
	v_mul_u32_u24_dpp v64, v16, v54 row_newbcast:0 row_mask:0xf bank_mask:0xf// 000000014AB4: 10806CFA FF015010
	v_mul_u32_u24_dpp v65, v16, v54 row_newbcast:4 row_mask:0xf bank_mask:0xf// 000000014ABC: 10826CFA FF015410
	v_mul_u32_u24_dpp v66, v16, v54 row_newbcast:8 row_mask:0xf bank_mask:0xf// 000000014AC4: 10846CFA FF015810
	v_mul_u32_u24_dpp v67, v16, v54 row_newbcast:12 row_mask:0xf bank_mask:0xf// 000000014ACC: 10866CFA FF015C10
	v_add_u32_e32 v22, v64, v5                                 // 000000014AD4: 682C0B40
	v_add_u32_e32 v23, v65, v5                                 // 000000014AD8: 682E0B41
	v_add_u32_e32 v24, v66, v5                                 // 000000014ADC: 68300B42
	v_add_u32_e32 v25, v67, v5                                 // 000000014AE0: 68320B43
	v_mul_u32_u24_dpp v64, v16, v63 quad_perm:[0,0,0,0] row_mask:0xf bank_mask:0xf// 000000014AE4: 10807EFA FF000010
	v_add_u32_e32 v2, v64, v59                                 // 000000014AEC: 68047740
	v_mul_u32_u24_dpp v64, v16, v63 quad_perm:[0,0,0,0] row_mask:0xf bank_mask:0xf// 000000014AF0: 10807EFA FF000010
	v_add_u32_e32 v55, v64, v60                                // 000000014AF8: 686E7940
	v_mfma_i32_16x16x32_i8 v[112:115], a[32:33], v[80:81], 0   // 000000014AFC: D3D70070 0A02A120
	buffer_load_dwordx4 a[0:3], v22, s[16:19], 0 offen         // 000000014B04: E05C1000 80840016
	v_mfma_i32_16x16x32_i8 v[112:115], a[34:35], v[82:83], v[112:115]// 000000014B0C: D3D70070 0DC2A522
	v_mfma_i32_16x16x32_i8 v[112:115], a[36:37], v[84:85], v[112:115]// 000000014B14: D3D70070 0DC2A924
	buffer_load_dword v17, v1, s[24:27], 0 offen               // 000000014B1C: E0501000 80061101
	v_mfma_i32_16x16x32_i8 v[112:115], a[38:39], v[86:87], v[112:115]// 000000014B24: D3D70070 0DC2AD26
	v_mfma_i32_16x16x32_i8 v[116:119], a[40:41], v[80:81], 0   // 000000014B2C: D3D70074 0A02A128
	buffer_load_dwordx4 a[4:7], v22, s[16:19], 0 offen offset:1024// 000000014B34: E05C1400 80840416
	v_mfma_i32_16x16x32_i8 v[116:119], a[42:43], v[82:83], v[116:119]// 000000014B3C: D3D70074 0DD2A52A
	v_mfma_i32_16x16x32_i8 v[116:119], a[44:45], v[84:85], v[116:119]// 000000014B44: D3D70074 0DD2A92C
	v_mfma_i32_16x16x32_i8 v[116:119], a[46:47], v[86:87], v[116:119]// 000000014B4C: D3D70074 0DD2AD2E
	v_mfma_i32_16x16x32_i8 v[120:123], a[48:49], v[80:81], 0   // 000000014B54: D3D70078 0A02A130
	buffer_load_dwordx4 a[8:11], v23, s[16:19], 0 offen        // 000000014B5C: E05C1000 80840817
	v_mfma_i32_16x16x32_i8 v[120:123], a[50:51], v[82:83], v[120:123]// 000000014B64: D3D70078 0DE2A532
	v_mfma_i32_16x16x32_i8 v[120:123], a[52:53], v[84:85], v[120:123]// 000000014B6C: D3D70078 0DE2A934
	v_mfma_i32_16x16x32_i8 v[120:123], a[54:55], v[86:87], v[120:123]// 000000014B74: D3D70078 0DE2AD36
	v_mfma_i32_16x16x32_i8 v[124:127], a[56:57], v[80:81], 0   // 000000014B7C: D3D7007C 0A02A138
	buffer_load_dwordx4 a[12:15], v23, s[16:19], 0 offen offset:1024// 000000014B84: E05C1400 80840C17
	v_mfma_i32_16x16x32_i8 v[124:127], a[58:59], v[82:83], v[124:127]// 000000014B8C: D3D7007C 0DF2A53A
	v_mfma_i32_16x16x32_i8 v[124:127], a[60:61], v[84:85], v[124:127]// 000000014B94: D3D7007C 0DF2A93C
	v_mfma_i32_16x16x32_i8 v[124:127], a[62:63], v[86:87], v[124:127]// 000000014B9C: D3D7007C 0DF2AD3E
	v_mfma_i32_16x16x32_i8 v[128:131], a[32:33], v[88:89], 0   // 000000014BA4: D3D70080 0A02B120
	v_mfma_i32_16x16x32_i8 v[128:131], a[34:35], v[90:91], v[128:131]// 000000014BAC: D3D70080 0E02B522
	v_mfma_i32_16x16x32_i8 v[128:131], a[36:37], v[92:93], v[128:131]// 000000014BB4: D3D70080 0E02B924
	v_mfma_i32_16x16x32_i8 v[128:131], a[38:39], v[94:95], v[128:131]// 000000014BBC: D3D70080 0E02BD26
	v_mfma_i32_16x16x32_i8 v[132:135], a[40:41], v[88:89], 0   // 000000014BC4: D3D70084 0A02B128
	v_mfma_i32_16x16x32_i8 v[132:135], a[42:43], v[90:91], v[132:135]// 000000014BCC: D3D70084 0E12B52A
	v_mfma_i32_16x16x32_i8 v[132:135], a[44:45], v[92:93], v[132:135]// 000000014BD4: D3D70084 0E12B92C
	v_mfma_i32_16x16x32_i8 v[132:135], a[46:47], v[94:95], v[132:135]// 000000014BDC: D3D70084 0E12BD2E
	v_mfma_i32_16x16x32_i8 v[136:139], a[48:49], v[88:89], 0   // 000000014BE4: D3D70088 0A02B130
	v_mfma_i32_16x16x32_i8 v[136:139], a[50:51], v[90:91], v[136:139]// 000000014BEC: D3D70088 0E22B532
	v_mfma_i32_16x16x32_i8 v[136:139], a[52:53], v[92:93], v[136:139]// 000000014BF4: D3D70088 0E22B934
	v_mfma_i32_16x16x32_i8 v[136:139], a[54:55], v[94:95], v[136:139]// 000000014BFC: D3D70088 0E22BD36
	v_mfma_i32_16x16x32_i8 v[140:143], a[56:57], v[88:89], 0   // 000000014C04: D3D7008C 0A02B138
	v_mfma_i32_16x16x32_i8 v[140:143], a[58:59], v[90:91], v[140:143]// 000000014C0C: D3D7008C 0E32B53A
	v_mfma_i32_16x16x32_i8 v[140:143], a[60:61], v[92:93], v[140:143]// 000000014C14: D3D7008C 0E32B93C
	v_mfma_i32_16x16x32_i8 v[140:143], a[62:63], v[94:95], v[140:143]// 000000014C1C: D3D7008C 0E32BD3E
	v_mfma_i32_16x16x32_i8 v[144:147], a[32:33], v[96:97], 0   // 000000014C24: D3D70090 0A02C120
	v_mfma_i32_16x16x32_i8 v[144:147], a[34:35], v[98:99], v[144:147]// 000000014C2C: D3D70090 0E42C522
	v_mfma_i32_16x16x32_i8 v[144:147], a[36:37], v[100:101], v[144:147]// 000000014C34: D3D70090 0E42C924
	v_mfma_i32_16x16x32_i8 v[144:147], a[38:39], v[102:103], v[144:147]// 000000014C3C: D3D70090 0E42CD26
	v_mfma_i32_16x16x32_i8 v[148:151], a[40:41], v[96:97], 0   // 000000014C44: D3D70094 0A02C128
	v_mfma_i32_16x16x32_i8 v[148:151], a[42:43], v[98:99], v[148:151]// 000000014C4C: D3D70094 0E52C52A
	v_mfma_i32_16x16x32_i8 v[148:151], a[44:45], v[100:101], v[148:151]// 000000014C54: D3D70094 0E52C92C
	v_mfma_i32_16x16x32_i8 v[148:151], a[46:47], v[102:103], v[148:151]// 000000014C5C: D3D70094 0E52CD2E
	v_mfma_i32_16x16x32_i8 v[152:155], a[48:49], v[96:97], 0   // 000000014C64: D3D70098 0A02C130
	v_mfma_i32_16x16x32_i8 v[152:155], a[50:51], v[98:99], v[152:155]// 000000014C6C: D3D70098 0E62C532
	v_mfma_i32_16x16x32_i8 v[152:155], a[52:53], v[100:101], v[152:155]// 000000014C74: D3D70098 0E62C934
	v_mfma_i32_16x16x32_i8 v[152:155], a[54:55], v[102:103], v[152:155]// 000000014C7C: D3D70098 0E62CD36
	v_mfma_i32_16x16x32_i8 v[156:159], a[56:57], v[96:97], 0   // 000000014C84: D3D7009C 0A02C138
	v_mfma_i32_16x16x32_i8 v[156:159], a[58:59], v[98:99], v[156:159]// 000000014C8C: D3D7009C 0E72C53A
	v_mfma_i32_16x16x32_i8 v[156:159], a[60:61], v[100:101], v[156:159]// 000000014C94: D3D7009C 0E72C93C
	v_mfma_i32_16x16x32_i8 v[156:159], a[62:63], v[102:103], v[156:159]// 000000014C9C: D3D7009C 0E72CD3E
	buffer_load_dword v42, v2, s[32:35], 0 offen               // 000000014CA4: E0501000 80082A02
	v_mov_b32_dpp v64, v43 row_shr:4 row_mask:0xf bank_mask:0xf// 000000014CAC: 7E8002FA FF01142B
	v_mov_b32_dpp v65, v43 row_shl:4 row_mask:0xf bank_mask:0xf// 000000014CB4: 7E8202FA FF01042B
	v_cndmask_b32_e64 v248, v43, v64, s[44:45]                 // 000000014CBC: D10000F8 00B2812B
	v_cndmask_b32_e64 v249, v65, v43, s[44:45]                 // 000000014CC4: D10000F9 00B25741
	v_mov_b32_dpp v64, v248 row_shr:8 row_mask:0xf bank_mask:0xf// 000000014CCC: 7E8002FA FF0118F8
	v_mov_b32_dpp v65, v248 row_shl:8 row_mask:0xf bank_mask:0xf// 000000014CD4: 7E8202FA FF0108F8
	v_mov_b32_dpp v66, v249 row_shr:8 row_mask:0xf bank_mask:0xf// 000000014CDC: 7E8402FA FF0118F9
	v_mov_b32_dpp v67, v249 row_shl:8 row_mask:0xf bank_mask:0xf// 000000014CE4: 7E8602FA FF0108F9
	v_mov_b32_e32 v68, v248                                    // 000000014CEC: 7E8803F8
	v_mov_b32_e32 v69, v249                                    // 000000014CF0: 7E8A03F9
	v_cndmask_b32_e64 v248, v68, v64, s[42:43]                 // 000000014CF4: D10000F8 00AA8144
	v_cndmask_b32_e64 v250, v68, v65, s[78:79]                 // 000000014CFC: D10000FA 013A8344
	v_cndmask_b32_e64 v249, v69, v66, s[42:43]                 // 000000014D04: D10000F9 00AA8545
	v_cndmask_b32_e64 v251, v69, v67, s[78:79]                 // 000000014D0C: D10000FB 013A8745
	v_mov_b32_dpp v64, v58 row_shr:4 row_mask:0xf bank_mask:0xf// 000000014D14: 7E8002FA FF01143A
	v_mov_b32_dpp v65, v58 row_shl:4 row_mask:0xf bank_mask:0xf// 000000014D1C: 7E8202FA FF01043A
	v_cndmask_b32_e64 v252, v58, v64, s[44:45]                 // 000000014D24: D10000FC 00B2813A
	v_cndmask_b32_e64 v253, v65, v58, s[44:45]                 // 000000014D2C: D10000FD 00B27541
	v_mov_b32_dpp v64, v252 row_shr:8 row_mask:0xf bank_mask:0xf// 000000014D34: 7E8002FA FF0118FC
	v_mov_b32_dpp v65, v252 row_shl:8 row_mask:0xf bank_mask:0xf// 000000014D3C: 7E8202FA FF0108FC
	v_mov_b32_dpp v66, v253 row_shr:8 row_mask:0xf bank_mask:0xf// 000000014D44: 7E8402FA FF0118FD
	v_mov_b32_dpp v67, v253 row_shl:8 row_mask:0xf bank_mask:0xf// 000000014D4C: 7E8602FA FF0108FD
	v_mov_b32_e32 v68, v252                                    // 000000014D54: 7E8803FC
	v_mov_b32_e32 v69, v253                                    // 000000014D58: 7E8A03FD
	v_cndmask_b32_e64 v252, v68, v64, s[42:43]                 // 000000014D5C: D10000FC 00AA8144
	v_cndmask_b32_e64 v254, v68, v65, s[78:79]                 // 000000014D64: D10000FE 013A8344
	v_cndmask_b32_e64 v253, v69, v66, s[42:43]                 // 000000014D6C: D10000FD 00AA8545
	v_cndmask_b32_e64 v255, v69, v67, s[78:79]                 // 000000014D74: D10000FF 013A8745
	buffer_load_dword v57, v55, s[36:39], 0 offen              // 000000014D7C: E0501000 80093937
	v_cvt_f32_i32_e32 v112, v112                               // 000000014D84: 7EE00B70
	v_cvt_f32_i32_e32 v113, v113                               // 000000014D88: 7EE20B71
	v_cvt_f32_i32_e32 v114, v114                               // 000000014D8C: 7EE40B72
	v_cvt_f32_i32_e32 v115, v115                               // 000000014D90: 7EE60B73
	v_cvt_f32_i32_e32 v116, v116                               // 000000014D94: 7EE80B74
	v_cvt_f32_i32_e32 v117, v117                               // 000000014D98: 7EEA0B75
	v_cvt_f32_i32_e32 v118, v118                               // 000000014D9C: 7EEC0B76
	v_cvt_f32_i32_e32 v119, v119                               // 000000014DA0: 7EEE0B77
	v_cvt_f32_i32_e32 v120, v120                               // 000000014DA4: 7EF00B78
	v_cvt_f32_i32_e32 v121, v121                               // 000000014DA8: 7EF20B79
	v_cvt_f32_i32_e32 v122, v122                               // 000000014DAC: 7EF40B7A
	v_cvt_f32_i32_e32 v123, v123                               // 000000014DB0: 7EF60B7B
	v_cvt_f32_i32_e32 v124, v124                               // 000000014DB4: 7EF80B7C
	v_cvt_f32_i32_e32 v125, v125                               // 000000014DB8: 7EFA0B7D
	v_cvt_f32_i32_e32 v126, v126                               // 000000014DBC: 7EFC0B7E
	v_cvt_f32_i32_e32 v127, v127                               // 000000014DC0: 7EFE0B7F
	v_mul_f32_e32 v112, v18, v112                              // 000000014DC4: 0AE0E112
	v_mul_f32_e32 v113, v18, v113                              // 000000014DC8: 0AE2E312
	v_mul_f32_e32 v114, v18, v114                              // 000000014DCC: 0AE4E512
	v_mul_f32_e32 v115, v18, v115                              // 000000014DD0: 0AE6E712
	v_mul_f32_e32 v116, v18, v116                              // 000000014DD4: 0AE8E912
	v_mul_f32_e32 v117, v18, v117                              // 000000014DD8: 0AEAEB12
	v_mul_f32_e32 v118, v18, v118                              // 000000014DDC: 0AECED12
	v_mul_f32_e32 v119, v18, v119                              // 000000014DE0: 0AEEEF12
	v_mul_f32_e32 v120, v18, v120                              // 000000014DE4: 0AF0F112
	v_mul_f32_e32 v121, v18, v121                              // 000000014DE8: 0AF2F312
	v_mul_f32_e32 v122, v18, v122                              // 000000014DEC: 0AF4F512
	v_mul_f32_e32 v123, v18, v123                              // 000000014DF0: 0AF6F712
	v_mul_f32_e32 v124, v18, v124                              // 000000014DF4: 0AF8F912
	v_mul_f32_e32 v125, v18, v125                              // 000000014DF8: 0AFAFB12
	v_mul_f32_e32 v126, v18, v126                              // 000000014DFC: 0AFCFD12
	v_mul_f32_e32 v127, v18, v127                              // 000000014E00: 0AFEFF12
	buffer_load_dwordx4 a[16:19], v24, s[16:19], 0 offen       // 000000014E04: E05C1000 80841018
	v_mul_f32_dpp v112, v248, v112 quad_perm:[0,0,0,0] row_mask:0xf bank_mask:0xf// 000000014E0C: 0AE0E0FA FF0000F8
	v_mul_f32_dpp v113, v248, v113 quad_perm:[1,1,1,1] row_mask:0xf bank_mask:0xf// 000000014E14: 0AE2E2FA FF0055F8
	v_mul_f32_dpp v114, v248, v114 quad_perm:[2,2,2,2] row_mask:0xf bank_mask:0xf// 000000014E1C: 0AE4E4FA FF00AAF8
	v_mul_f32_dpp v115, v248, v115 quad_perm:[3,3,3,3] row_mask:0xf bank_mask:0xf// 000000014E24: 0AE6E6FA FF00FFF8
	v_mul_f32_dpp v116, v249, v116 quad_perm:[0,0,0,0] row_mask:0xf bank_mask:0xf// 000000014E2C: 0AE8E8FA FF0000F9
	v_mul_f32_dpp v117, v249, v117 quad_perm:[1,1,1,1] row_mask:0xf bank_mask:0xf// 000000014E34: 0AEAEAFA FF0055F9
	v_mul_f32_dpp v118, v249, v118 quad_perm:[2,2,2,2] row_mask:0xf bank_mask:0xf// 000000014E3C: 0AECECFA FF00AAF9
	v_mul_f32_dpp v119, v249, v119 quad_perm:[3,3,3,3] row_mask:0xf bank_mask:0xf// 000000014E44: 0AEEEEFA FF00FFF9
	v_mul_f32_dpp v120, v250, v120 quad_perm:[0,0,0,0] row_mask:0xf bank_mask:0xf// 000000014E4C: 0AF0F0FA FF0000FA
	v_mul_f32_dpp v121, v250, v121 quad_perm:[1,1,1,1] row_mask:0xf bank_mask:0xf// 000000014E54: 0AF2F2FA FF0055FA
	v_mul_f32_dpp v122, v250, v122 quad_perm:[2,2,2,2] row_mask:0xf bank_mask:0xf// 000000014E5C: 0AF4F4FA FF00AAFA
	v_mul_f32_dpp v123, v250, v123 quad_perm:[3,3,3,3] row_mask:0xf bank_mask:0xf// 000000014E64: 0AF6F6FA FF00FFFA
	v_mul_f32_dpp v124, v251, v124 quad_perm:[0,0,0,0] row_mask:0xf bank_mask:0xf// 000000014E6C: 0AF8F8FA FF0000FB
	v_mul_f32_dpp v125, v251, v125 quad_perm:[1,1,1,1] row_mask:0xf bank_mask:0xf// 000000014E74: 0AFAFAFA FF0055FB
	v_mul_f32_dpp v126, v251, v126 quad_perm:[2,2,2,2] row_mask:0xf bank_mask:0xf// 000000014E7C: 0AFCFCFA FF00AAFB
	v_mul_f32_dpp v127, v251, v127 quad_perm:[3,3,3,3] row_mask:0xf bank_mask:0xf// 000000014E84: 0AFEFEFA FF00FFFB
	buffer_load_dwordx4 a[20:23], v24, s[16:19], 0 offen offset:1024// 000000014E8C: E05C1400 80841418
	v_mov_b32_e32 v48, v112                                    // 000000014E94: 7E600370
	v_max3_f32 v48, v112, v113, v48                            // 000000014E98: D1D30030 04C2E370
	v_max3_f32 v48, v114, v115, v48                            // 000000014EA0: D1D30030 04C2E772
	v_max3_f32 v48, v116, v117, v48                            // 000000014EA8: D1D30030 04C2EB74
	v_max3_f32 v48, v118, v119, v48                            // 000000014EB0: D1D30030 04C2EF76
	v_max3_f32 v48, v120, v121, v48                            // 000000014EB8: D1D30030 04C2F378
	v_max3_f32 v48, v122, v123, v48                            // 000000014EC0: D1D30030 04C2F77A
	v_max3_f32 v48, v124, v125, v48                            // 000000014EC8: D1D30030 04C2FB7C
	v_max3_f32 v48, v126, v127, v48                            // 000000014ED0: D1D30030 04C2FF7E
	ds_write_b32 v8, v48 offset:16896                          // 000000014ED8: D81A4200 00003008
	buffer_load_dwordx4 a[24:27], v25, s[16:19], 0 offen       // 000000014EE0: E05C1000 80841819
	v_mul_u32_u24_dpp v64, v16, v54 row_newbcast:1 row_mask:0xf bank_mask:0xf// 000000014EE8: 10806CFA FF015110
	v_mul_u32_u24_dpp v65, v16, v54 row_newbcast:5 row_mask:0xf bank_mask:0xf// 000000014EF0: 10826CFA FF015510
	v_mul_u32_u24_dpp v66, v16, v54 row_newbcast:9 row_mask:0xf bank_mask:0xf// 000000014EF8: 10846CFA FF015910
	v_mul_u32_u24_dpp v67, v16, v54 row_newbcast:13 row_mask:0xf bank_mask:0xf// 000000014F00: 10866CFA FF015D10
	v_add_u32_e32 v30, v64, v6                                 // 000000014F08: 683C0D40
	v_add_u32_e32 v31, v65, v6                                 // 000000014F0C: 683E0D41
	v_add_u32_e32 v32, v66, v6                                 // 000000014F10: 68400D42
	v_add_u32_e32 v33, v67, v6                                 // 000000014F14: 68420D43
	v_mul_f32_e32 v208, v49, v208                              // 000000014F18: 0BA1A131
	v_mul_f32_e32 v209, v49, v209                              // 000000014F1C: 0BA3A331
	v_mul_f32_e32 v210, v49, v210                              // 000000014F20: 0BA5A531
	v_mul_f32_e32 v211, v49, v211                              // 000000014F24: 0BA7A731
	v_mul_f32_e32 v212, v49, v212                              // 000000014F28: 0BA9A931
	v_mul_f32_e32 v213, v49, v213                              // 000000014F2C: 0BABAB31
	v_mul_f32_e32 v214, v49, v214                              // 000000014F30: 0BADAD31
	v_mul_f32_e32 v215, v49, v215                              // 000000014F34: 0BAFAF31
	s_waitcnt lgkmcnt(0)                                       // 000000014F38: BF8CC07F
	s_barrier                                                  // 000000014F3C: BF8A0000
	ds_read_b32 v64, v7 offset:16896                           // 000000014F40: D86C4200 40000007
	ds_read_b32 v65, v7 offset:16960                           // 000000014F48: D86C4240 41000007
	ds_read_b32 v66, v7 offset:17024                           // 000000014F50: D86C4280 42000007
	ds_read_b32 v67, v7 offset:17088                           // 000000014F58: D86C42C0 43000007
	ds_read_b32 v68, v7 offset:17152                           // 000000014F60: D86C4300 44000007
	ds_read_b32 v69, v7 offset:17216                           // 000000014F68: D86C4340 45000007
	ds_read_b32 v70, v7 offset:17280                           // 000000014F70: D86C4380 46000007
	ds_read_b32 v71, v7 offset:17344                           // 000000014F78: D86C43C0 47000007
	ds_read_b32 v72, v7 offset:17408                           // 000000014F80: D86C4400 48000007
	ds_read_b32 v73, v7 offset:17472                           // 000000014F88: D86C4440 49000007
	ds_read_b32 v74, v7 offset:17536                           // 000000014F90: D86C4480 4A000007
	ds_read_b32 v75, v7 offset:17600                           // 000000014F98: D86C44C0 4B000007
	ds_read_b32 v76, v7 offset:17664                           // 000000014FA0: D86C4500 4C000007
	ds_read_b32 v77, v7 offset:17728                           // 000000014FA8: D86C4540 4D000007
	ds_read_b32 v78, v7 offset:17792                           // 000000014FB0: D86C4580 4E000007
	ds_read_b32 v79, v7 offset:17856                           // 000000014FB8: D86C45C0 4F000007
	buffer_load_dwordx4 a[28:31], v25, s[16:19], 0 offen offset:1024// 000000014FC0: E05C1400 80841C19
	v_cvt_f32_i32_e32 v176, v176                               // 000000014FC8: 7F600BB0
	v_cvt_f32_i32_e32 v177, v177                               // 000000014FCC: 7F620BB1
	v_cvt_f32_i32_e32 v178, v178                               // 000000014FD0: 7F640BB2
	v_cvt_f32_i32_e32 v179, v179                               // 000000014FD4: 7F660BB3
	v_cvt_f32_i32_e32 v180, v180                               // 000000014FD8: 7F680BB4
	v_cvt_f32_i32_e32 v181, v181                               // 000000014FDC: 7F6A0BB5
	v_cvt_f32_i32_e32 v182, v182                               // 000000014FE0: 7F6C0BB6
	v_cvt_f32_i32_e32 v183, v183                               // 000000014FE4: 7F6E0BB7
	v_mul_f32_e32 v176, v44, v176                              // 000000014FE8: 0B61612C
	v_mul_f32_e32 v177, v44, v177                              // 000000014FEC: 0B63632C
	v_mul_f32_e32 v178, v44, v178                              // 000000014FF0: 0B65652C
	v_mul_f32_e32 v179, v44, v179                              // 000000014FF4: 0B67672C
	v_mul_f32_e32 v180, v44, v180                              // 000000014FF8: 0B69692C
	v_mul_f32_e32 v181, v44, v181                              // 000000014FFC: 0B6B6B2C
	v_mul_f32_e32 v182, v44, v182                              // 000000015000: 0B6D6D2C
	v_mul_f32_e32 v183, v44, v183                              // 000000015004: 0B6F6F2C
	s_waitcnt lgkmcnt(0)                                       // 000000015008: BF8CC07F
	v_max3_f32 v48, v64, v65, v48                              // 00000001500C: D1D30030 04C28340
	v_max3_f32 v48, v66, v67, v48                              // 000000015014: D1D30030 04C28742
	v_max3_f32 v48, v68, v69, v48                              // 00000001501C: D1D30030 04C28B44
	v_max3_f32 v48, v70, v71, v48                              // 000000015024: D1D30030 04C28F46
	v_max3_f32 v48, v72, v73, v48                              // 00000001502C: D1D30030 04C29348
	v_max3_f32 v48, v74, v75, v48                              // 000000015034: D1D30030 04C2974A
	v_max3_f32 v48, v76, v77, v48                              // 00000001503C: D1D30030 04C29B4C
	v_max3_f32 v48, v78, v79, v48                              // 000000015044: D1D30030 04C29F4E
	buffer_load_dwordx4 a[64:67], v30, s[20:23], 0 offen       // 00000001504C: E05C1000 8085401E
	v_mov_b32_e32 v64, 0xff800000                              // 000000015054: 7E8002FF FF800000
	v_cmp_eq_u32_e64 s[40:41], v64, v11                        // 00000001505C: D0CA0028 00021740
	s_nop 1                                                    // 000000015064: BF800001
	v_max_f32_e32 v15, v48, v11                                // 000000015068: 161E1730
	v_mul_f32_e32 v53, s64, v15                                // 00000001506C: 0A6A1E40
	v_fma_f32 v112, v112, s64, -v53                            // 000000015070: D1CB0070 84D48170
	v_fma_f32 v113, v113, s64, -v53                            // 000000015078: D1CB0071 84D48171
	v_fma_f32 v114, v114, s64, -v53                            // 000000015080: D1CB0072 84D48172
	v_fma_f32 v115, v115, s64, -v53                            // 000000015088: D1CB0073 84D48173
	v_fma_f32 v116, v116, s64, -v53                            // 000000015090: D1CB0074 84D48174
	v_fma_f32 v117, v117, s64, -v53                            // 000000015098: D1CB0075 84D48175
	v_fma_f32 v118, v118, s64, -v53                            // 0000000150A0: D1CB0076 84D48176
	v_fma_f32 v119, v119, s64, -v53                            // 0000000150A8: D1CB0077 84D48177
	v_fma_f32 v120, v120, s64, -v53                            // 0000000150B0: D1CB0078 84D48178
	v_fma_f32 v121, v121, s64, -v53                            // 0000000150B8: D1CB0079 84D48179
	v_fma_f32 v122, v122, s64, -v53                            // 0000000150C0: D1CB007A 84D4817A
	v_fma_f32 v123, v123, s64, -v53                            // 0000000150C8: D1CB007B 84D4817B
	v_fma_f32 v124, v124, s64, -v53                            // 0000000150D0: D1CB007C 84D4817C
	v_fma_f32 v125, v125, s64, -v53                            // 0000000150D8: D1CB007D 84D4817D
	v_fma_f32 v126, v126, s64, -v53                            // 0000000150E0: D1CB007E 84D4817E
	v_fma_f32 v127, v127, s64, -v53                            // 0000000150E8: D1CB007F 84D4817F
	buffer_load_dwordx4 a[68:71], v31, s[20:23], 0 offen       // 0000000150F0: E05C1000 8085441F
	v_exp_f32_e32 v112, v112                                   // 0000000150F8: 7EE04170
	v_exp_f32_e32 v113, v113                                   // 0000000150FC: 7EE24171
	v_exp_f32_e32 v114, v114                                   // 000000015100: 7EE44172
	v_exp_f32_e32 v115, v115                                   // 000000015104: 7EE64173
	v_exp_f32_e32 v116, v116                                   // 000000015108: 7EE84174
	v_exp_f32_e32 v117, v117                                   // 00000001510C: 7EEA4175
	v_exp_f32_e32 v118, v118                                   // 000000015110: 7EEC4176
	v_exp_f32_e32 v119, v119                                   // 000000015114: 7EEE4177
	v_exp_f32_e32 v120, v120                                   // 000000015118: 7EF04178
	v_exp_f32_e32 v121, v121                                   // 00000001511C: 7EF24179
	v_exp_f32_e32 v122, v122                                   // 000000015120: 7EF4417A
	v_exp_f32_e32 v123, v123                                   // 000000015124: 7EF6417B
	v_exp_f32_e32 v124, v124                                   // 000000015128: 7EF8417C
	v_exp_f32_e32 v125, v125                                   // 00000001512C: 7EFA417D
	v_exp_f32_e32 v126, v126                                   // 000000015130: 7EFC417E
	v_exp_f32_e32 v127, v127                                   // 000000015134: 7EFE417F
	buffer_load_dwordx4 a[72:75], v32, s[20:23], 0 offen       // 000000015138: E05C1000 80854820
	v_mul_f32_dpp v240, v252, v112 quad_perm:[0,0,0,0] row_mask:0xf bank_mask:0xf// 000000015140: 0BE0E0FA FF0000FC
	v_mul_f32_dpp v241, v252, v113 quad_perm:[1,1,1,1] row_mask:0xf bank_mask:0xf// 000000015148: 0BE2E2FA FF0055FC
	v_mul_f32_dpp v242, v252, v114 quad_perm:[2,2,2,2] row_mask:0xf bank_mask:0xf// 000000015150: 0BE4E4FA FF00AAFC
	v_mul_f32_dpp v243, v252, v115 quad_perm:[3,3,3,3] row_mask:0xf bank_mask:0xf// 000000015158: 0BE6E6FA FF00FFFC
	v_mul_f32_dpp v244, v253, v116 quad_perm:[0,0,0,0] row_mask:0xf bank_mask:0xf// 000000015160: 0BE8E8FA FF0000FD
	v_mul_f32_dpp v245, v253, v117 quad_perm:[1,1,1,1] row_mask:0xf bank_mask:0xf// 000000015168: 0BEAEAFA FF0055FD
	v_mul_f32_dpp v246, v253, v118 quad_perm:[2,2,2,2] row_mask:0xf bank_mask:0xf// 000000015170: 0BECECFA FF00AAFD
	v_mul_f32_dpp v247, v253, v119 quad_perm:[3,3,3,3] row_mask:0xf bank_mask:0xf// 000000015178: 0BEEEEFA FF00FFFD
	v_mul_f32_dpp v248, v254, v120 quad_perm:[0,0,0,0] row_mask:0xf bank_mask:0xf// 000000015180: 0BF0F0FA FF0000FE
	v_mul_f32_dpp v249, v254, v121 quad_perm:[1,1,1,1] row_mask:0xf bank_mask:0xf// 000000015188: 0BF2F2FA FF0055FE
	v_mul_f32_dpp v250, v254, v122 quad_perm:[2,2,2,2] row_mask:0xf bank_mask:0xf// 000000015190: 0BF4F4FA FF00AAFE
	v_mul_f32_dpp v251, v254, v123 quad_perm:[3,3,3,3] row_mask:0xf bank_mask:0xf// 000000015198: 0BF6F6FA FF00FFFE
	v_mul_f32_dpp v252, v255, v124 quad_perm:[0,0,0,0] row_mask:0xf bank_mask:0xf// 0000000151A0: 0BF8F8FA FF0000FF
	v_mul_f32_dpp v253, v255, v125 quad_perm:[1,1,1,1] row_mask:0xf bank_mask:0xf// 0000000151A8: 0BFAFAFA FF0055FF
	v_mul_f32_dpp v254, v255, v126 quad_perm:[2,2,2,2] row_mask:0xf bank_mask:0xf// 0000000151B0: 0BFCFCFA FF00AAFF
	v_mul_f32_dpp v255, v255, v127 quad_perm:[3,3,3,3] row_mask:0xf bank_mask:0xf// 0000000151B8: 0BFEFEFA FF00FFFF
	v_mov_b32_e32 v48, 0x358637bd                              // 0000000151C0: 7E6002FF 358637BD
	v_max3_f32 v48, |v240|, |v241|, v48                        // 0000000151C8: D1D30330 04C3E3F0
	v_max3_f32 v48, |v242|, |v243|, v48                        // 0000000151D0: D1D30330 04C3E7F2
	v_max3_f32 v48, |v244|, |v245|, v48                        // 0000000151D8: D1D30330 04C3EBF4
	v_max3_f32 v48, |v246|, |v247|, v48                        // 0000000151E0: D1D30330 04C3EFF6
	v_max3_f32 v48, |v248|, |v249|, v48                        // 0000000151E8: D1D30330 04C3F3F8
	v_max3_f32 v48, |v250|, |v251|, v48                        // 0000000151F0: D1D30330 04C3F7FA
	v_max3_f32 v48, |v252|, |v253|, v48                        // 0000000151F8: D1D30330 04C3FBFC
	v_max3_f32 v48, |v254|, |v255|, v48                        // 000000015200: D1D30330 04C3FFFE
	buffer_load_dwordx4 a[76:79], v33, s[20:23], 0 offen       // 000000015208: E05C1000 80854C21
	ds_write_b32 v8, v48 offset:20992                          // 000000015210: D81A5200 00003008
	v_sub_f32_e32 v49, v11, v15                                // 000000015218: 04621F0B
	v_cndmask_b32_e64 v49, v49, 0, s[40:41]                    // 00000001521C: D1000031 00A10131
	v_mov_b32_e32 v11, v15                                     // 000000015224: 7E16030F
	v_mul_f32_e32 v49, s64, v49                                // 000000015228: 0A626240
	v_exp_f32_e32 v49, v49                                     // 00000001522C: 7E624131
	s_waitcnt lgkmcnt(0)                                       // 000000015230: BF8CC07F
	s_barrier                                                  // 000000015234: BF8A0000
	ds_read_b32 v64, v7 offset:20992                           // 000000015238: D86C5200 40000007
	ds_read_b32 v65, v7 offset:21056                           // 000000015240: D86C5240 41000007
	ds_read_b32 v66, v7 offset:21120                           // 000000015248: D86C5280 42000007
	ds_read_b32 v67, v7 offset:21184                           // 000000015250: D86C52C0 43000007
	ds_read_b32 v68, v7 offset:21248                           // 000000015258: D86C5300 44000007
	ds_read_b32 v69, v7 offset:21312                           // 000000015260: D86C5340 45000007
	ds_read_b32 v70, v7 offset:21376                           // 000000015268: D86C5380 46000007
	ds_read_b32 v71, v7 offset:21440                           // 000000015270: D86C53C0 47000007
	ds_read_b32 v72, v7 offset:21504                           // 000000015278: D86C5400 48000007
	ds_read_b32 v73, v7 offset:21568                           // 000000015280: D86C5440 49000007
	ds_read_b32 v74, v7 offset:21632                           // 000000015288: D86C5480 4A000007
	ds_read_b32 v75, v7 offset:21696                           // 000000015290: D86C54C0 4B000007
	ds_read_b32 v76, v7 offset:21760                           // 000000015298: D86C5500 4C000007
	ds_read_b32 v77, v7 offset:21824                           // 0000000152A0: D86C5540 4D000007
	ds_read_b32 v78, v7 offset:21888                           // 0000000152A8: D86C5580 4E000007
	ds_read_b32 v79, v7 offset:21952                           // 0000000152B0: D86C55C0 4F000007
	v_mul_f32_e32 v38, v49, v38                                // 0000000152B8: 0A4C4D31
	v_mov_b32_e32 v15, v112                                    // 0000000152BC: 7E1E0370
	v_add_f32_e32 v15, v113, v15                               // 0000000152C0: 021E1F71
	v_add_f32_e32 v15, v114, v15                               // 0000000152C4: 021E1F72
	v_add_f32_e32 v15, v115, v15                               // 0000000152C8: 021E1F73
	v_add_f32_e32 v15, v116, v15                               // 0000000152CC: 021E1F74
	v_add_f32_e32 v15, v117, v15                               // 0000000152D0: 021E1F75
	v_add_f32_e32 v15, v118, v15                               // 0000000152D4: 021E1F76
	v_add_f32_e32 v15, v119, v15                               // 0000000152D8: 021E1F77
	v_add_f32_e32 v15, v120, v15                               // 0000000152DC: 021E1F78
	v_add_f32_e32 v15, v121, v15                               // 0000000152E0: 021E1F79
	v_add_f32_e32 v15, v122, v15                               // 0000000152E4: 021E1F7A
	v_add_f32_e32 v15, v123, v15                               // 0000000152E8: 021E1F7B
	v_add_f32_e32 v15, v124, v15                               // 0000000152EC: 021E1F7C
	v_add_f32_e32 v15, v125, v15                               // 0000000152F0: 021E1F7D
	v_add_f32_e32 v15, v126, v15                               // 0000000152F4: 021E1F7E
	v_add_f32_e32 v15, v127, v15                               // 0000000152F8: 021E1F7F
	v_add_f32_e32 v38, v15, v38                                // 0000000152FC: 024C4D0F
	s_waitcnt lgkmcnt(0)                                       // 000000015300: BF8CC07F
	v_max3_f32 v48, |v64|, |v65|, v48                          // 000000015304: D1D30330 04C28340
	v_max3_f32 v48, |v66|, |v67|, v48                          // 00000001530C: D1D30330 04C28742
	v_max3_f32 v48, |v68|, |v69|, v48                          // 000000015314: D1D30330 04C28B44
	v_max3_f32 v48, |v70|, |v71|, v48                          // 00000001531C: D1D30330 04C28F46
	v_max3_f32 v48, |v72|, |v73|, v48                          // 000000015324: D1D30330 04C29348
	v_max3_f32 v48, |v74|, |v75|, v48                          // 00000001532C: D1D30330 04C2974A
	v_max3_f32 v48, |v76|, |v77|, v48                          // 000000015334: D1D30330 04C29B4C
	v_max3_f32 v48, |v78|, |v79|, v48                          // 00000001533C: D1D30330 04C29F4E
	s_nop 2                                                    // 000000015344: BF800002
	v_rcp_f32_e32 v48, v48                                     // 000000015348: 7E604530
	s_nop 1                                                    // 00000001534C: BF800001
	v_mul_f32_e32 v48, 0x42fe0000, v48                         // 000000015350: 0A6060FF 42FE0000
	v_mul_f32_e32 v112, v48, v240                              // 000000015358: 0AE1E130
	v_mul_f32_e32 v113, v48, v241                              // 00000001535C: 0AE3E330
	v_mul_f32_e32 v114, v48, v242                              // 000000015360: 0AE5E530
	v_mul_f32_e32 v115, v48, v243                              // 000000015364: 0AE7E730
	v_mul_f32_e32 v116, v48, v244                              // 000000015368: 0AE9E930
	v_mul_f32_e32 v117, v48, v245                              // 00000001536C: 0AEBEB30
	v_mul_f32_e32 v118, v48, v246                              // 000000015370: 0AEDED30
	v_mul_f32_e32 v119, v48, v247                              // 000000015374: 0AEFEF30
	v_mul_f32_e32 v120, v48, v248                              // 000000015378: 0AF1F130
	v_mul_f32_e32 v121, v48, v249                              // 00000001537C: 0AF3F330
	v_mul_f32_e32 v122, v48, v250                              // 000000015380: 0AF5F530
	v_mul_f32_e32 v123, v48, v251                              // 000000015384: 0AF7F730
	v_mul_f32_e32 v124, v48, v252                              // 000000015388: 0AF9F930
	v_mul_f32_e32 v125, v48, v253                              // 00000001538C: 0AFBFB30
	v_mul_f32_e32 v126, v48, v254                              // 000000015390: 0AFDFD30
	v_mul_f32_e32 v127, v48, v255                              // 000000015394: 0AFFFF30
	v_cvt_i32_f32_e32 v112, v112                               // 000000015398: 7EE01170
	v_cvt_i32_f32_e32 v113, v113                               // 00000001539C: 7EE21171
	v_cvt_i32_f32_e32 v114, v114                               // 0000000153A0: 7EE41172
	v_cvt_i32_f32_e32 v115, v115                               // 0000000153A4: 7EE61173
	v_cvt_i32_f32_e32 v116, v116                               // 0000000153A8: 7EE81174
	v_cvt_i32_f32_e32 v117, v117                               // 0000000153AC: 7EEA1175
	v_cvt_i32_f32_e32 v118, v118                               // 0000000153B0: 7EEC1176
	v_cvt_i32_f32_e32 v119, v119                               // 0000000153B4: 7EEE1177
	v_cvt_i32_f32_e32 v120, v120                               // 0000000153B8: 7EF01178
	v_cvt_i32_f32_e32 v121, v121                               // 0000000153BC: 7EF21179
	v_cvt_i32_f32_e32 v122, v122                               // 0000000153C0: 7EF4117A
	v_cvt_i32_f32_e32 v123, v123                               // 0000000153C4: 7EF6117B
	v_cvt_i32_f32_e32 v124, v124                               // 0000000153C8: 7EF8117C
	v_cvt_i32_f32_e32 v125, v125                               // 0000000153CC: 7EFA117D
	v_cvt_i32_f32_e32 v126, v126                               // 0000000153D0: 7EFC117E
	v_cvt_i32_f32_e32 v127, v127                               // 0000000153D4: 7EFE117F
	v_perm_b32 v112, v113, v112, s53                           // 0000000153D8: D1ED0070 00D6E171
	v_perm_b32 v112, v114, v112, s54                           // 0000000153E0: D1ED0070 00DAE172
	v_perm_b32 v112, v115, v112, s55                           // 0000000153E8: D1ED0070 00DEE173
	v_perm_b32 v113, v117, v116, s53                           // 0000000153F0: D1ED0071 00D6E975
	v_perm_b32 v113, v118, v113, s54                           // 0000000153F8: D1ED0071 00DAE376
	v_perm_b32 v113, v119, v113, s55                           // 000000015400: D1ED0071 00DEE377
	v_perm_b32 v114, v121, v120, s53                           // 000000015408: D1ED0072 00D6F179
	v_perm_b32 v114, v122, v114, s54                           // 000000015410: D1ED0072 00DAE57A
	v_perm_b32 v114, v123, v114, s55                           // 000000015418: D1ED0072 00DEE57B
	v_perm_b32 v115, v125, v124, s53                           // 000000015420: D1ED0073 00D6F97D
	v_perm_b32 v115, v126, v115, s54                           // 000000015428: D1ED0073 00DAE77E
	v_perm_b32 v115, v127, v115, s55                           // 000000015430: D1ED0073 00DEE77F
	ds_write_b32 v10, v112 offset:25088                        // 000000015438: D81A6200 0000700A
	ds_write_b32 v10, v113 offset:26112                        // 000000015440: D81A6600 0000710A
	ds_write_b32 v10, v114 offset:27136                        // 000000015448: D81A6A00 0000720A
	ds_write_b32 v10, v115 offset:28160                        // 000000015450: D81A6E00 0000730A
	v_add_f32_e32 v208, v208, v176                             // 000000015458: 03A161D0
	v_add_f32_e32 v209, v209, v177                             // 00000001545C: 03A363D1
	v_add_f32_e32 v210, v210, v178                             // 000000015460: 03A565D2
	v_add_f32_e32 v211, v211, v179                             // 000000015464: 03A767D3
	v_add_f32_e32 v212, v212, v180                             // 000000015468: 03A969D4
	v_add_f32_e32 v213, v213, v181                             // 00000001546C: 03AB6BD5
	v_add_f32_e32 v214, v214, v182                             // 000000015470: 03AD6DD6
	v_add_f32_e32 v215, v215, v183                             // 000000015474: 03AF6FD7
	v_rcp_f32_e32 v44, v48                                     // 000000015478: 7E584530
	s_waitcnt lgkmcnt(0)                                       // 00000001547C: BF8CC07F
	s_barrier                                                  // 000000015480: BF8A0000
	ds_read_b64 v[112:113], v9 offset:25088                    // 000000015484: D8EC6200 70000009
	ds_read_b64 v[114:115], v9 offset:25216                    // 00000001548C: D8EC6280 72000009
	ds_read_b64 v[116:117], v9 offset:26112                    // 000000015494: D8EC6600 74000009
	ds_read_b64 v[118:119], v9 offset:26240                    // 00000001549C: D8EC6680 76000009
	ds_read_b64 v[120:121], v9 offset:27136                    // 0000000154A4: D8EC6A00 78000009
	ds_read_b64 v[122:123], v9 offset:27264                    // 0000000154AC: D8EC6A80 7A000009
	ds_read_b64 v[124:125], v9 offset:28160                    // 0000000154B4: D8EC6E00 7C000009
	ds_read_b64 v[126:127], v9 offset:28288                    // 0000000154BC: D8EC6E80 7E000009
	v_mov_b32_dpp v64, v43 row_shr:4 row_mask:0xf bank_mask:0xf// 0000000154C4: 7E8002FA FF01142B
	v_mov_b32_dpp v65, v43 row_shl:4 row_mask:0xf bank_mask:0xf// 0000000154CC: 7E8202FA FF01042B
	v_cndmask_b32_e64 v248, v43, v64, s[44:45]                 // 0000000154D4: D10000F8 00B2812B
	v_cndmask_b32_e64 v249, v65, v43, s[44:45]                 // 0000000154DC: D10000F9 00B25741
	v_mov_b32_dpp v64, v248 row_shr:8 row_mask:0xf bank_mask:0xf// 0000000154E4: 7E8002FA FF0118F8
	v_mov_b32_dpp v65, v248 row_shl:8 row_mask:0xf bank_mask:0xf// 0000000154EC: 7E8202FA FF0108F8
	v_mov_b32_dpp v66, v249 row_shr:8 row_mask:0xf bank_mask:0xf// 0000000154F4: 7E8402FA FF0118F9
	v_mov_b32_dpp v67, v249 row_shl:8 row_mask:0xf bank_mask:0xf// 0000000154FC: 7E8602FA FF0108F9
	v_mov_b32_e32 v68, v248                                    // 000000015504: 7E8803F8
	v_mov_b32_e32 v69, v249                                    // 000000015508: 7E8A03F9
	v_cndmask_b32_e64 v248, v68, v64, s[42:43]                 // 00000001550C: D10000F8 00AA8144
	v_cndmask_b32_e64 v250, v68, v65, s[78:79]                 // 000000015514: D10000FA 013A8344
	v_cndmask_b32_e64 v249, v69, v66, s[42:43]                 // 00000001551C: D10000F9 00AA8545
	v_cndmask_b32_e64 v251, v69, v67, s[78:79]                 // 000000015524: D10000FB 013A8745
	v_mov_b32_dpp v64, v58 row_shr:4 row_mask:0xf bank_mask:0xf// 00000001552C: 7E8002FA FF01143A
	v_mov_b32_dpp v65, v58 row_shl:4 row_mask:0xf bank_mask:0xf// 000000015534: 7E8202FA FF01043A
	v_cndmask_b32_e64 v252, v58, v64, s[44:45]                 // 00000001553C: D10000FC 00B2813A
	v_cndmask_b32_e64 v253, v65, v58, s[44:45]                 // 000000015544: D10000FD 00B27541
	v_mov_b32_dpp v64, v252 row_shr:8 row_mask:0xf bank_mask:0xf// 00000001554C: 7E8002FA FF0118FC
	v_mov_b32_dpp v65, v252 row_shl:8 row_mask:0xf bank_mask:0xf// 000000015554: 7E8202FA FF0108FC
	v_mov_b32_dpp v66, v253 row_shr:8 row_mask:0xf bank_mask:0xf// 00000001555C: 7E8402FA FF0118FD
	v_mov_b32_dpp v67, v253 row_shl:8 row_mask:0xf bank_mask:0xf// 000000015564: 7E8602FA FF0108FD
	v_mov_b32_e32 v68, v252                                    // 00000001556C: 7E8803FC
	v_mov_b32_e32 v69, v253                                    // 000000015570: 7E8A03FD
	v_cndmask_b32_e64 v252, v68, v64, s[42:43]                 // 000000015574: D10000FC 00AA8144
	v_cndmask_b32_e64 v254, v68, v65, s[78:79]                 // 00000001557C: D10000FE 013A8344
	v_cndmask_b32_e64 v253, v69, v66, s[42:43]                 // 000000015584: D10000FD 00AA8545
	v_cndmask_b32_e64 v255, v69, v67, s[78:79]                 // 00000001558C: D10000FF 013A8745
	v_cvt_f32_i32_e32 v128, v128                               // 000000015594: 7F000B80
	v_cvt_f32_i32_e32 v129, v129                               // 000000015598: 7F020B81
	v_cvt_f32_i32_e32 v130, v130                               // 00000001559C: 7F040B82
	v_cvt_f32_i32_e32 v131, v131                               // 0000000155A0: 7F060B83
	v_cvt_f32_i32_e32 v132, v132                               // 0000000155A4: 7F080B84
	v_cvt_f32_i32_e32 v133, v133                               // 0000000155A8: 7F0A0B85
	v_cvt_f32_i32_e32 v134, v134                               // 0000000155AC: 7F0C0B86
	v_cvt_f32_i32_e32 v135, v135                               // 0000000155B0: 7F0E0B87
	v_cvt_f32_i32_e32 v136, v136                               // 0000000155B4: 7F100B88
	v_cvt_f32_i32_e32 v137, v137                               // 0000000155B8: 7F120B89
	v_cvt_f32_i32_e32 v138, v138                               // 0000000155BC: 7F140B8A
	v_cvt_f32_i32_e32 v139, v139                               // 0000000155C0: 7F160B8B
	v_cvt_f32_i32_e32 v140, v140                               // 0000000155C4: 7F180B8C
	v_cvt_f32_i32_e32 v141, v141                               // 0000000155C8: 7F1A0B8D
	v_cvt_f32_i32_e32 v142, v142                               // 0000000155CC: 7F1C0B8E
	v_cvt_f32_i32_e32 v143, v143                               // 0000000155D0: 7F1E0B8F
	v_mul_f32_e32 v128, v19, v128                              // 0000000155D4: 0B010113
	v_mul_f32_e32 v129, v19, v129                              // 0000000155D8: 0B030313
	v_mul_f32_e32 v130, v19, v130                              // 0000000155DC: 0B050513
	v_mul_f32_e32 v131, v19, v131                              // 0000000155E0: 0B070713
	v_mul_f32_e32 v132, v19, v132                              // 0000000155E4: 0B090913
	v_mul_f32_e32 v133, v19, v133                              // 0000000155E8: 0B0B0B13
	v_mul_f32_e32 v134, v19, v134                              // 0000000155EC: 0B0D0D13
	v_mul_f32_e32 v135, v19, v135                              // 0000000155F0: 0B0F0F13
	v_mul_f32_e32 v136, v19, v136                              // 0000000155F4: 0B111113
	v_mul_f32_e32 v137, v19, v137                              // 0000000155F8: 0B131313
	v_mul_f32_e32 v138, v19, v138                              // 0000000155FC: 0B151513
	v_mul_f32_e32 v139, v19, v139                              // 000000015600: 0B171713
	v_mul_f32_e32 v140, v19, v140                              // 000000015604: 0B191913
	v_mul_f32_e32 v141, v19, v141                              // 000000015608: 0B1B1B13
	v_mul_f32_e32 v142, v19, v142                              // 00000001560C: 0B1D1D13
	v_mul_f32_e32 v143, v19, v143                              // 000000015610: 0B1F1F13
	v_mul_f32_dpp v128, v248, v128 quad_perm:[0,0,0,0] row_mask:0xf bank_mask:0xf// 000000015614: 0B0100FA FF0000F8
	v_mul_f32_dpp v129, v248, v129 quad_perm:[1,1,1,1] row_mask:0xf bank_mask:0xf// 00000001561C: 0B0302FA FF0055F8
	v_mul_f32_dpp v130, v248, v130 quad_perm:[2,2,2,2] row_mask:0xf bank_mask:0xf// 000000015624: 0B0504FA FF00AAF8
	v_mul_f32_dpp v131, v248, v131 quad_perm:[3,3,3,3] row_mask:0xf bank_mask:0xf// 00000001562C: 0B0706FA FF00FFF8
	v_mul_f32_dpp v132, v249, v132 quad_perm:[0,0,0,0] row_mask:0xf bank_mask:0xf// 000000015634: 0B0908FA FF0000F9
	v_mul_f32_dpp v133, v249, v133 quad_perm:[1,1,1,1] row_mask:0xf bank_mask:0xf// 00000001563C: 0B0B0AFA FF0055F9
	v_mul_f32_dpp v134, v249, v134 quad_perm:[2,2,2,2] row_mask:0xf bank_mask:0xf// 000000015644: 0B0D0CFA FF00AAF9
	v_mul_f32_dpp v135, v249, v135 quad_perm:[3,3,3,3] row_mask:0xf bank_mask:0xf// 00000001564C: 0B0F0EFA FF00FFF9
	v_mul_f32_dpp v136, v250, v136 quad_perm:[0,0,0,0] row_mask:0xf bank_mask:0xf// 000000015654: 0B1110FA FF0000FA
	v_mul_f32_dpp v137, v250, v137 quad_perm:[1,1,1,1] row_mask:0xf bank_mask:0xf// 00000001565C: 0B1312FA FF0055FA
	v_mul_f32_dpp v138, v250, v138 quad_perm:[2,2,2,2] row_mask:0xf bank_mask:0xf// 000000015664: 0B1514FA FF00AAFA
	v_mul_f32_dpp v139, v250, v139 quad_perm:[3,3,3,3] row_mask:0xf bank_mask:0xf// 00000001566C: 0B1716FA FF00FFFA
	v_mul_f32_dpp v140, v251, v140 quad_perm:[0,0,0,0] row_mask:0xf bank_mask:0xf// 000000015674: 0B1918FA FF0000FB
	v_mul_f32_dpp v141, v251, v141 quad_perm:[1,1,1,1] row_mask:0xf bank_mask:0xf// 00000001567C: 0B1B1AFA FF0055FB
	v_mul_f32_dpp v142, v251, v142 quad_perm:[2,2,2,2] row_mask:0xf bank_mask:0xf// 000000015684: 0B1D1CFA FF00AAFB
	v_mul_f32_dpp v143, v251, v143 quad_perm:[3,3,3,3] row_mask:0xf bank_mask:0xf// 00000001568C: 0B1F1EFA FF00FFFB
	v_mov_b32_e32 v48, v128                                    // 000000015694: 7E600380
	v_max3_f32 v48, v128, v129, v48                            // 000000015698: D1D30030 04C30380
	v_max3_f32 v48, v130, v131, v48                            // 0000000156A0: D1D30030 04C30782
	v_max3_f32 v48, v132, v133, v48                            // 0000000156A8: D1D30030 04C30B84
	v_max3_f32 v48, v134, v135, v48                            // 0000000156B0: D1D30030 04C30F86
	v_max3_f32 v48, v136, v137, v48                            // 0000000156B8: D1D30030 04C31388
	v_max3_f32 v48, v138, v139, v48                            // 0000000156C0: D1D30030 04C3178A
	v_max3_f32 v48, v140, v141, v48                            // 0000000156C8: D1D30030 04C31B8C
	v_max3_f32 v48, v142, v143, v48                            // 0000000156D0: D1D30030 04C31F8E
	ds_write_b32 v8, v48 offset:16896                          // 0000000156D8: D81A4200 00003008
	v_mul_f32_e32 v216, v50, v216                              // 0000000156E0: 0BB1B132
	v_mul_f32_e32 v217, v50, v217                              // 0000000156E4: 0BB3B332
	v_mul_f32_e32 v218, v50, v218                              // 0000000156E8: 0BB5B532
	v_mul_f32_e32 v219, v50, v219                              // 0000000156EC: 0BB7B732
	v_mul_f32_e32 v220, v50, v220                              // 0000000156F0: 0BB9B932
	v_mul_f32_e32 v221, v50, v221                              // 0000000156F4: 0BBBBB32
	v_mul_f32_e32 v222, v50, v222                              // 0000000156F8: 0BBDBD32
	v_mul_f32_e32 v223, v50, v223                              // 0000000156FC: 0BBFBF32
	s_waitcnt lgkmcnt(0)                                       // 000000015700: BF8CC07F
	s_barrier                                                  // 000000015704: BF8A0000
	ds_read_b32 v64, v7 offset:16896                           // 000000015708: D86C4200 40000007
	ds_read_b32 v65, v7 offset:16960                           // 000000015710: D86C4240 41000007
	ds_read_b32 v66, v7 offset:17024                           // 000000015718: D86C4280 42000007
	ds_read_b32 v67, v7 offset:17088                           // 000000015720: D86C42C0 43000007
	ds_read_b32 v68, v7 offset:17152                           // 000000015728: D86C4300 44000007
	ds_read_b32 v69, v7 offset:17216                           // 000000015730: D86C4340 45000007
	ds_read_b32 v70, v7 offset:17280                           // 000000015738: D86C4380 46000007
	ds_read_b32 v71, v7 offset:17344                           // 000000015740: D86C43C0 47000007
	ds_read_b32 v72, v7 offset:17408                           // 000000015748: D86C4400 48000007
	ds_read_b32 v73, v7 offset:17472                           // 000000015750: D86C4440 49000007
	ds_read_b32 v74, v7 offset:17536                           // 000000015758: D86C4480 4A000007
	ds_read_b32 v75, v7 offset:17600                           // 000000015760: D86C44C0 4B000007
	ds_read_b32 v76, v7 offset:17664                           // 000000015768: D86C4500 4C000007
	ds_read_b32 v77, v7 offset:17728                           // 000000015770: D86C4540 4D000007
	ds_read_b32 v78, v7 offset:17792                           // 000000015778: D86C4580 4E000007
	ds_read_b32 v79, v7 offset:17856                           // 000000015780: D86C45C0 4F000007
	v_cvt_f32_i32_e32 v184, v184                               // 000000015788: 7F700BB8
	v_cvt_f32_i32_e32 v185, v185                               // 00000001578C: 7F720BB9
	v_cvt_f32_i32_e32 v186, v186                               // 000000015790: 7F740BBA
	v_cvt_f32_i32_e32 v187, v187                               // 000000015794: 7F760BBB
	v_cvt_f32_i32_e32 v188, v188                               // 000000015798: 7F780BBC
	v_cvt_f32_i32_e32 v189, v189                               // 00000001579C: 7F7A0BBD
	v_cvt_f32_i32_e32 v190, v190                               // 0000000157A0: 7F7C0BBE
	v_cvt_f32_i32_e32 v191, v191                               // 0000000157A4: 7F7E0BBF
	v_mul_f32_e32 v184, v45, v184                              // 0000000157A8: 0B71712D
	v_mul_f32_e32 v185, v45, v185                              // 0000000157AC: 0B73732D
	v_mul_f32_e32 v186, v45, v186                              // 0000000157B0: 0B75752D
	v_mul_f32_e32 v187, v45, v187                              // 0000000157B4: 0B77772D
	v_mul_f32_e32 v188, v45, v188                              // 0000000157B8: 0B79792D
	v_mul_f32_e32 v189, v45, v189                              // 0000000157BC: 0B7B7B2D
	v_mul_f32_e32 v190, v45, v190                              // 0000000157C0: 0B7D7D2D
	v_mul_f32_e32 v191, v45, v191                              // 0000000157C4: 0B7F7F2D
	s_waitcnt lgkmcnt(0)                                       // 0000000157C8: BF8CC07F
	v_max3_f32 v48, v64, v65, v48                              // 0000000157CC: D1D30030 04C28340
	v_max3_f32 v48, v66, v67, v48                              // 0000000157D4: D1D30030 04C28742
	v_max3_f32 v48, v68, v69, v48                              // 0000000157DC: D1D30030 04C28B44
	v_max3_f32 v48, v70, v71, v48                              // 0000000157E4: D1D30030 04C28F46
	v_max3_f32 v48, v72, v73, v48                              // 0000000157EC: D1D30030 04C29348
	v_max3_f32 v48, v74, v75, v48                              // 0000000157F4: D1D30030 04C2974A
	v_max3_f32 v48, v76, v77, v48                              // 0000000157FC: D1D30030 04C29B4C
	v_max3_f32 v48, v78, v79, v48                              // 000000015804: D1D30030 04C29F4E
	v_mov_b32_e32 v64, 0xff800000                              // 00000001580C: 7E8002FF FF800000
	v_cmp_eq_u32_e64 s[40:41], v64, v12                        // 000000015814: D0CA0028 00021940
	s_nop 1                                                    // 00000001581C: BF800001
	v_max_f32_e32 v15, v48, v12                                // 000000015820: 161E1930
	v_mul_f32_e32 v53, s64, v15                                // 000000015824: 0A6A1E40
	v_fma_f32 v128, v128, s64, -v53                            // 000000015828: D1CB0080 84D48180
	v_fma_f32 v129, v129, s64, -v53                            // 000000015830: D1CB0081 84D48181
	v_fma_f32 v130, v130, s64, -v53                            // 000000015838: D1CB0082 84D48182
	v_fma_f32 v131, v131, s64, -v53                            // 000000015840: D1CB0083 84D48183
	v_fma_f32 v132, v132, s64, -v53                            // 000000015848: D1CB0084 84D48184
	v_fma_f32 v133, v133, s64, -v53                            // 000000015850: D1CB0085 84D48185
	v_fma_f32 v134, v134, s64, -v53                            // 000000015858: D1CB0086 84D48186
	v_fma_f32 v135, v135, s64, -v53                            // 000000015860: D1CB0087 84D48187
	v_fma_f32 v136, v136, s64, -v53                            // 000000015868: D1CB0088 84D48188
	v_fma_f32 v137, v137, s64, -v53                            // 000000015870: D1CB0089 84D48189
	v_fma_f32 v138, v138, s64, -v53                            // 000000015878: D1CB008A 84D4818A
	v_fma_f32 v139, v139, s64, -v53                            // 000000015880: D1CB008B 84D4818B
	v_fma_f32 v140, v140, s64, -v53                            // 000000015888: D1CB008C 84D4818C
	v_fma_f32 v141, v141, s64, -v53                            // 000000015890: D1CB008D 84D4818D
	v_fma_f32 v142, v142, s64, -v53                            // 000000015898: D1CB008E 84D4818E
	v_fma_f32 v143, v143, s64, -v53                            // 0000000158A0: D1CB008F 84D4818F
	v_exp_f32_e32 v128, v128                                   // 0000000158A8: 7F004180
	v_exp_f32_e32 v129, v129                                   // 0000000158AC: 7F024181
	v_exp_f32_e32 v130, v130                                   // 0000000158B0: 7F044182
	v_exp_f32_e32 v131, v131                                   // 0000000158B4: 7F064183
	v_exp_f32_e32 v132, v132                                   // 0000000158B8: 7F084184
	v_exp_f32_e32 v133, v133                                   // 0000000158BC: 7F0A4185
	v_exp_f32_e32 v134, v134                                   // 0000000158C0: 7F0C4186
	v_exp_f32_e32 v135, v135                                   // 0000000158C4: 7F0E4187
	v_exp_f32_e32 v136, v136                                   // 0000000158C8: 7F104188
	v_exp_f32_e32 v137, v137                                   // 0000000158CC: 7F124189
	v_exp_f32_e32 v138, v138                                   // 0000000158D0: 7F14418A
	v_exp_f32_e32 v139, v139                                   // 0000000158D4: 7F16418B
	v_exp_f32_e32 v140, v140                                   // 0000000158D8: 7F18418C
	v_exp_f32_e32 v141, v141                                   // 0000000158DC: 7F1A418D
	v_exp_f32_e32 v142, v142                                   // 0000000158E0: 7F1C418E
	v_exp_f32_e32 v143, v143                                   // 0000000158E4: 7F1E418F
	v_mul_f32_dpp v240, v252, v128 quad_perm:[0,0,0,0] row_mask:0xf bank_mask:0xf// 0000000158E8: 0BE100FA FF0000FC
	v_mul_f32_dpp v241, v252, v129 quad_perm:[1,1,1,1] row_mask:0xf bank_mask:0xf// 0000000158F0: 0BE302FA FF0055FC
	v_mul_f32_dpp v242, v252, v130 quad_perm:[2,2,2,2] row_mask:0xf bank_mask:0xf// 0000000158F8: 0BE504FA FF00AAFC
	v_mul_f32_dpp v243, v252, v131 quad_perm:[3,3,3,3] row_mask:0xf bank_mask:0xf// 000000015900: 0BE706FA FF00FFFC
	v_mul_f32_dpp v244, v253, v132 quad_perm:[0,0,0,0] row_mask:0xf bank_mask:0xf// 000000015908: 0BE908FA FF0000FD
	v_mul_f32_dpp v245, v253, v133 quad_perm:[1,1,1,1] row_mask:0xf bank_mask:0xf// 000000015910: 0BEB0AFA FF0055FD
	v_mul_f32_dpp v246, v253, v134 quad_perm:[2,2,2,2] row_mask:0xf bank_mask:0xf// 000000015918: 0BED0CFA FF00AAFD
	v_mul_f32_dpp v247, v253, v135 quad_perm:[3,3,3,3] row_mask:0xf bank_mask:0xf// 000000015920: 0BEF0EFA FF00FFFD
	v_mul_f32_dpp v248, v254, v136 quad_perm:[0,0,0,0] row_mask:0xf bank_mask:0xf// 000000015928: 0BF110FA FF0000FE
	v_mul_f32_dpp v249, v254, v137 quad_perm:[1,1,1,1] row_mask:0xf bank_mask:0xf// 000000015930: 0BF312FA FF0055FE
	v_mul_f32_dpp v250, v254, v138 quad_perm:[2,2,2,2] row_mask:0xf bank_mask:0xf// 000000015938: 0BF514FA FF00AAFE
	v_mul_f32_dpp v251, v254, v139 quad_perm:[3,3,3,3] row_mask:0xf bank_mask:0xf// 000000015940: 0BF716FA FF00FFFE
	v_mul_f32_dpp v252, v255, v140 quad_perm:[0,0,0,0] row_mask:0xf bank_mask:0xf// 000000015948: 0BF918FA FF0000FF
	v_mul_f32_dpp v253, v255, v141 quad_perm:[1,1,1,1] row_mask:0xf bank_mask:0xf// 000000015950: 0BFB1AFA FF0055FF
	v_mul_f32_dpp v254, v255, v142 quad_perm:[2,2,2,2] row_mask:0xf bank_mask:0xf// 000000015958: 0BFD1CFA FF00AAFF
	v_mul_f32_dpp v255, v255, v143 quad_perm:[3,3,3,3] row_mask:0xf bank_mask:0xf// 000000015960: 0BFF1EFA FF00FFFF
	v_mov_b32_e32 v48, 0x358637bd                              // 000000015968: 7E6002FF 358637BD
	v_max3_f32 v48, |v240|, |v241|, v48                        // 000000015970: D1D30330 04C3E3F0
	v_max3_f32 v48, |v242|, |v243|, v48                        // 000000015978: D1D30330 04C3E7F2
	v_max3_f32 v48, |v244|, |v245|, v48                        // 000000015980: D1D30330 04C3EBF4
	v_max3_f32 v48, |v246|, |v247|, v48                        // 000000015988: D1D30330 04C3EFF6
	v_max3_f32 v48, |v248|, |v249|, v48                        // 000000015990: D1D30330 04C3F3F8
	v_max3_f32 v48, |v250|, |v251|, v48                        // 000000015998: D1D30330 04C3F7FA
	v_max3_f32 v48, |v252|, |v253|, v48                        // 0000000159A0: D1D30330 04C3FBFC
	v_max3_f32 v48, |v254|, |v255|, v48                        // 0000000159A8: D1D30330 04C3FFFE
	ds_write_b32 v8, v48 offset:20992                          // 0000000159B0: D81A5200 00003008
	v_sub_f32_e32 v50, v12, v15                                // 0000000159B8: 04641F0C
	v_cndmask_b32_e64 v50, v50, 0, s[40:41]                    // 0000000159BC: D1000032 00A10132
	v_mov_b32_e32 v12, v15                                     // 0000000159C4: 7E18030F
	v_mul_f32_e32 v50, s64, v50                                // 0000000159C8: 0A646440
	v_exp_f32_e32 v50, v50                                     // 0000000159CC: 7E644132
	s_waitcnt lgkmcnt(0)                                       // 0000000159D0: BF8CC07F
	s_barrier                                                  // 0000000159D4: BF8A0000
	ds_read_b32 v64, v7 offset:20992                           // 0000000159D8: D86C5200 40000007
	ds_read_b32 v65, v7 offset:21056                           // 0000000159E0: D86C5240 41000007
	ds_read_b32 v66, v7 offset:21120                           // 0000000159E8: D86C5280 42000007
	ds_read_b32 v67, v7 offset:21184                           // 0000000159F0: D86C52C0 43000007
	ds_read_b32 v68, v7 offset:21248                           // 0000000159F8: D86C5300 44000007
	ds_read_b32 v69, v7 offset:21312                           // 000000015A00: D86C5340 45000007
	ds_read_b32 v70, v7 offset:21376                           // 000000015A08: D86C5380 46000007
	ds_read_b32 v71, v7 offset:21440                           // 000000015A10: D86C53C0 47000007
	ds_read_b32 v72, v7 offset:21504                           // 000000015A18: D86C5400 48000007
	ds_read_b32 v73, v7 offset:21568                           // 000000015A20: D86C5440 49000007
	ds_read_b32 v74, v7 offset:21632                           // 000000015A28: D86C5480 4A000007
	ds_read_b32 v75, v7 offset:21696                           // 000000015A30: D86C54C0 4B000007
	ds_read_b32 v76, v7 offset:21760                           // 000000015A38: D86C5500 4C000007
	ds_read_b32 v77, v7 offset:21824                           // 000000015A40: D86C5540 4D000007
	ds_read_b32 v78, v7 offset:21888                           // 000000015A48: D86C5580 4E000007
	ds_read_b32 v79, v7 offset:21952                           // 000000015A50: D86C55C0 4F000007
	v_mul_f32_e32 v39, v50, v39                                // 000000015A58: 0A4E4F32
	v_mov_b32_e32 v15, v128                                    // 000000015A5C: 7E1E0380
	v_add_f32_e32 v15, v129, v15                               // 000000015A60: 021E1F81
	v_add_f32_e32 v15, v130, v15                               // 000000015A64: 021E1F82
	v_add_f32_e32 v15, v131, v15                               // 000000015A68: 021E1F83
	v_add_f32_e32 v15, v132, v15                               // 000000015A6C: 021E1F84
	v_add_f32_e32 v15, v133, v15                               // 000000015A70: 021E1F85
	v_add_f32_e32 v15, v134, v15                               // 000000015A74: 021E1F86
	v_add_f32_e32 v15, v135, v15                               // 000000015A78: 021E1F87
	v_add_f32_e32 v15, v136, v15                               // 000000015A7C: 021E1F88
	v_add_f32_e32 v15, v137, v15                               // 000000015A80: 021E1F89
	v_add_f32_e32 v15, v138, v15                               // 000000015A84: 021E1F8A
	v_add_f32_e32 v15, v139, v15                               // 000000015A88: 021E1F8B
	v_add_f32_e32 v15, v140, v15                               // 000000015A8C: 021E1F8C
	v_add_f32_e32 v15, v141, v15                               // 000000015A90: 021E1F8D
	v_add_f32_e32 v15, v142, v15                               // 000000015A94: 021E1F8E
	v_add_f32_e32 v15, v143, v15                               // 000000015A98: 021E1F8F
	v_add_f32_e32 v39, v15, v39                                // 000000015A9C: 024E4F0F
	s_waitcnt lgkmcnt(0)                                       // 000000015AA0: BF8CC07F
	v_max3_f32 v48, |v64|, |v65|, v48                          // 000000015AA4: D1D30330 04C28340
	v_max3_f32 v48, |v66|, |v67|, v48                          // 000000015AAC: D1D30330 04C28742
	v_max3_f32 v48, |v68|, |v69|, v48                          // 000000015AB4: D1D30330 04C28B44
	v_max3_f32 v48, |v70|, |v71|, v48                          // 000000015ABC: D1D30330 04C28F46
	v_max3_f32 v48, |v72|, |v73|, v48                          // 000000015AC4: D1D30330 04C29348
	v_max3_f32 v48, |v74|, |v75|, v48                          // 000000015ACC: D1D30330 04C2974A
	v_max3_f32 v48, |v76|, |v77|, v48                          // 000000015AD4: D1D30330 04C29B4C
	v_max3_f32 v48, |v78|, |v79|, v48                          // 000000015ADC: D1D30330 04C29F4E
	s_nop 2                                                    // 000000015AE4: BF800002
	v_rcp_f32_e32 v48, v48                                     // 000000015AE8: 7E604530
	s_nop 1                                                    // 000000015AEC: BF800001
	v_mul_f32_e32 v48, 0x42fe0000, v48                         // 000000015AF0: 0A6060FF 42FE0000
	v_mul_f32_e32 v128, v48, v240                              // 000000015AF8: 0B01E130
	v_mul_f32_e32 v129, v48, v241                              // 000000015AFC: 0B03E330
	v_mul_f32_e32 v130, v48, v242                              // 000000015B00: 0B05E530
	v_mul_f32_e32 v131, v48, v243                              // 000000015B04: 0B07E730
	v_mul_f32_e32 v132, v48, v244                              // 000000015B08: 0B09E930
	v_mul_f32_e32 v133, v48, v245                              // 000000015B0C: 0B0BEB30
	v_mul_f32_e32 v134, v48, v246                              // 000000015B10: 0B0DED30
	v_mul_f32_e32 v135, v48, v247                              // 000000015B14: 0B0FEF30
	v_mul_f32_e32 v136, v48, v248                              // 000000015B18: 0B11F130
	v_mul_f32_e32 v137, v48, v249                              // 000000015B1C: 0B13F330
	v_mul_f32_e32 v138, v48, v250                              // 000000015B20: 0B15F530
	v_mul_f32_e32 v139, v48, v251                              // 000000015B24: 0B17F730
	v_mul_f32_e32 v140, v48, v252                              // 000000015B28: 0B19F930
	v_mul_f32_e32 v141, v48, v253                              // 000000015B2C: 0B1BFB30
	v_mul_f32_e32 v142, v48, v254                              // 000000015B30: 0B1DFD30
	v_mul_f32_e32 v143, v48, v255                              // 000000015B34: 0B1FFF30
	v_cvt_i32_f32_e32 v128, v128                               // 000000015B38: 7F001180
	v_cvt_i32_f32_e32 v129, v129                               // 000000015B3C: 7F021181
	v_cvt_i32_f32_e32 v130, v130                               // 000000015B40: 7F041182
	v_cvt_i32_f32_e32 v131, v131                               // 000000015B44: 7F061183
	v_cvt_i32_f32_e32 v132, v132                               // 000000015B48: 7F081184
	v_cvt_i32_f32_e32 v133, v133                               // 000000015B4C: 7F0A1185
	v_cvt_i32_f32_e32 v134, v134                               // 000000015B50: 7F0C1186
	v_cvt_i32_f32_e32 v135, v135                               // 000000015B54: 7F0E1187
	v_cvt_i32_f32_e32 v136, v136                               // 000000015B58: 7F101188
	v_cvt_i32_f32_e32 v137, v137                               // 000000015B5C: 7F121189
	v_cvt_i32_f32_e32 v138, v138                               // 000000015B60: 7F14118A
	v_cvt_i32_f32_e32 v139, v139                               // 000000015B64: 7F16118B
	v_cvt_i32_f32_e32 v140, v140                               // 000000015B68: 7F18118C
	v_cvt_i32_f32_e32 v141, v141                               // 000000015B6C: 7F1A118D
	v_cvt_i32_f32_e32 v142, v142                               // 000000015B70: 7F1C118E
	v_cvt_i32_f32_e32 v143, v143                               // 000000015B74: 7F1E118F
	v_perm_b32 v128, v129, v128, s53                           // 000000015B78: D1ED0080 00D70181
	v_perm_b32 v128, v130, v128, s54                           // 000000015B80: D1ED0080 00DB0182
	v_perm_b32 v128, v131, v128, s55                           // 000000015B88: D1ED0080 00DF0183
	v_perm_b32 v129, v133, v132, s53                           // 000000015B90: D1ED0081 00D70985
	v_perm_b32 v129, v134, v129, s54                           // 000000015B98: D1ED0081 00DB0386
	v_perm_b32 v129, v135, v129, s55                           // 000000015BA0: D1ED0081 00DF0387
	v_perm_b32 v130, v137, v136, s53                           // 000000015BA8: D1ED0082 00D71189
	v_perm_b32 v130, v138, v130, s54                           // 000000015BB0: D1ED0082 00DB058A
	v_perm_b32 v130, v139, v130, s55                           // 000000015BB8: D1ED0082 00DF058B
	v_perm_b32 v131, v141, v140, s53                           // 000000015BC0: D1ED0083 00D7198D
	v_perm_b32 v131, v142, v131, s54                           // 000000015BC8: D1ED0083 00DB078E
	v_perm_b32 v131, v143, v131, s55                           // 000000015BD0: D1ED0083 00DF078F
	ds_write_b32 v10, v128 offset:29184                        // 000000015BD8: D81A7200 0000800A
	ds_write_b32 v10, v129 offset:30208                        // 000000015BE0: D81A7600 0000810A
	ds_write_b32 v10, v130 offset:31232                        // 000000015BE8: D81A7A00 0000820A
	ds_write_b32 v10, v131 offset:32256                        // 000000015BF0: D81A7E00 0000830A
	v_add_f32_e32 v216, v216, v184                             // 000000015BF8: 03B171D8
	v_add_f32_e32 v217, v217, v185                             // 000000015BFC: 03B373D9
	v_add_f32_e32 v218, v218, v186                             // 000000015C00: 03B575DA
	v_add_f32_e32 v219, v219, v187                             // 000000015C04: 03B777DB
	v_add_f32_e32 v220, v220, v188                             // 000000015C08: 03B979DC
	v_add_f32_e32 v221, v221, v189                             // 000000015C0C: 03BB7BDD
	v_add_f32_e32 v222, v222, v190                             // 000000015C10: 03BD7DDE
	v_add_f32_e32 v223, v223, v191                             // 000000015C14: 03BF7FDF
	v_rcp_f32_e32 v45, v48                                     // 000000015C18: 7E5A4530
	s_waitcnt lgkmcnt(0)                                       // 000000015C1C: BF8CC07F
	s_barrier                                                  // 000000015C20: BF8A0000
	ds_read_b64 v[128:129], v9 offset:29184                    // 000000015C24: D8EC7200 80000009
	ds_read_b64 v[130:131], v9 offset:29312                    // 000000015C2C: D8EC7280 82000009
	ds_read_b64 v[132:133], v9 offset:30208                    // 000000015C34: D8EC7600 84000009
	ds_read_b64 v[134:135], v9 offset:30336                    // 000000015C3C: D8EC7680 86000009
	ds_read_b64 v[136:137], v9 offset:31232                    // 000000015C44: D8EC7A00 88000009
	ds_read_b64 v[138:139], v9 offset:31360                    // 000000015C4C: D8EC7A80 8A000009
	ds_read_b64 v[140:141], v9 offset:32256                    // 000000015C54: D8EC7E00 8C000009
	ds_read_b64 v[142:143], v9 offset:32384                    // 000000015C5C: D8EC7E80 8E000009
	v_mov_b32_dpp v64, v43 row_shr:4 row_mask:0xf bank_mask:0xf// 000000015C64: 7E8002FA FF01142B
	v_mov_b32_dpp v65, v43 row_shl:4 row_mask:0xf bank_mask:0xf// 000000015C6C: 7E8202FA FF01042B
	v_cndmask_b32_e64 v248, v43, v64, s[44:45]                 // 000000015C74: D10000F8 00B2812B
	v_cndmask_b32_e64 v249, v65, v43, s[44:45]                 // 000000015C7C: D10000F9 00B25741
	v_mov_b32_dpp v64, v248 row_shr:8 row_mask:0xf bank_mask:0xf// 000000015C84: 7E8002FA FF0118F8
	v_mov_b32_dpp v65, v248 row_shl:8 row_mask:0xf bank_mask:0xf// 000000015C8C: 7E8202FA FF0108F8
	v_mov_b32_dpp v66, v249 row_shr:8 row_mask:0xf bank_mask:0xf// 000000015C94: 7E8402FA FF0118F9
	v_mov_b32_dpp v67, v249 row_shl:8 row_mask:0xf bank_mask:0xf// 000000015C9C: 7E8602FA FF0108F9
	v_mov_b32_e32 v68, v248                                    // 000000015CA4: 7E8803F8
	v_mov_b32_e32 v69, v249                                    // 000000015CA8: 7E8A03F9
	v_cndmask_b32_e64 v248, v68, v64, s[42:43]                 // 000000015CAC: D10000F8 00AA8144
	v_cndmask_b32_e64 v250, v68, v65, s[78:79]                 // 000000015CB4: D10000FA 013A8344
	v_cndmask_b32_e64 v249, v69, v66, s[42:43]                 // 000000015CBC: D10000F9 00AA8545
	v_cndmask_b32_e64 v251, v69, v67, s[78:79]                 // 000000015CC4: D10000FB 013A8745
	v_mov_b32_dpp v64, v58 row_shr:4 row_mask:0xf bank_mask:0xf// 000000015CCC: 7E8002FA FF01143A
	v_mov_b32_dpp v65, v58 row_shl:4 row_mask:0xf bank_mask:0xf// 000000015CD4: 7E8202FA FF01043A
	v_cndmask_b32_e64 v252, v58, v64, s[44:45]                 // 000000015CDC: D10000FC 00B2813A
	v_cndmask_b32_e64 v253, v65, v58, s[44:45]                 // 000000015CE4: D10000FD 00B27541
	v_mov_b32_dpp v64, v252 row_shr:8 row_mask:0xf bank_mask:0xf// 000000015CEC: 7E8002FA FF0118FC
	v_mov_b32_dpp v65, v252 row_shl:8 row_mask:0xf bank_mask:0xf// 000000015CF4: 7E8202FA FF0108FC
	v_mov_b32_dpp v66, v253 row_shr:8 row_mask:0xf bank_mask:0xf// 000000015CFC: 7E8402FA FF0118FD
	v_mov_b32_dpp v67, v253 row_shl:8 row_mask:0xf bank_mask:0xf// 000000015D04: 7E8602FA FF0108FD
	v_mov_b32_e32 v68, v252                                    // 000000015D0C: 7E8803FC
	v_mov_b32_e32 v69, v253                                    // 000000015D10: 7E8A03FD
	v_cndmask_b32_e64 v252, v68, v64, s[42:43]                 // 000000015D14: D10000FC 00AA8144
	v_cndmask_b32_e64 v254, v68, v65, s[78:79]                 // 000000015D1C: D10000FE 013A8344
	v_cndmask_b32_e64 v253, v69, v66, s[42:43]                 // 000000015D24: D10000FD 00AA8545
	v_cndmask_b32_e64 v255, v69, v67, s[78:79]                 // 000000015D2C: D10000FF 013A8745
	v_cvt_f32_i32_e32 v144, v144                               // 000000015D34: 7F200B90
	v_cvt_f32_i32_e32 v145, v145                               // 000000015D38: 7F220B91
	v_cvt_f32_i32_e32 v146, v146                               // 000000015D3C: 7F240B92
	v_cvt_f32_i32_e32 v147, v147                               // 000000015D40: 7F260B93
	v_cvt_f32_i32_e32 v148, v148                               // 000000015D44: 7F280B94
	v_cvt_f32_i32_e32 v149, v149                               // 000000015D48: 7F2A0B95
	v_cvt_f32_i32_e32 v150, v150                               // 000000015D4C: 7F2C0B96
	v_cvt_f32_i32_e32 v151, v151                               // 000000015D50: 7F2E0B97
	v_cvt_f32_i32_e32 v152, v152                               // 000000015D54: 7F300B98
	v_cvt_f32_i32_e32 v153, v153                               // 000000015D58: 7F320B99
	v_cvt_f32_i32_e32 v154, v154                               // 000000015D5C: 7F340B9A
	v_cvt_f32_i32_e32 v155, v155                               // 000000015D60: 7F360B9B
	v_cvt_f32_i32_e32 v156, v156                               // 000000015D64: 7F380B9C
	v_cvt_f32_i32_e32 v157, v157                               // 000000015D68: 7F3A0B9D
	v_cvt_f32_i32_e32 v158, v158                               // 000000015D6C: 7F3C0B9E
	v_cvt_f32_i32_e32 v159, v159                               // 000000015D70: 7F3E0B9F
	v_mul_f32_e32 v144, v20, v144                              // 000000015D74: 0B212114
	v_mul_f32_e32 v145, v20, v145                              // 000000015D78: 0B232314
	v_mul_f32_e32 v146, v20, v146                              // 000000015D7C: 0B252514
	v_mul_f32_e32 v147, v20, v147                              // 000000015D80: 0B272714
	v_mul_f32_e32 v148, v20, v148                              // 000000015D84: 0B292914
	v_mul_f32_e32 v149, v20, v149                              // 000000015D88: 0B2B2B14
	v_mul_f32_e32 v150, v20, v150                              // 000000015D8C: 0B2D2D14
	v_mul_f32_e32 v151, v20, v151                              // 000000015D90: 0B2F2F14
	v_mul_f32_e32 v152, v20, v152                              // 000000015D94: 0B313114
	v_mul_f32_e32 v153, v20, v153                              // 000000015D98: 0B333314
	v_mul_f32_e32 v154, v20, v154                              // 000000015D9C: 0B353514
	v_mul_f32_e32 v155, v20, v155                              // 000000015DA0: 0B373714
	v_mul_f32_e32 v156, v20, v156                              // 000000015DA4: 0B393914
	v_mul_f32_e32 v157, v20, v157                              // 000000015DA8: 0B3B3B14
	v_mul_f32_e32 v158, v20, v158                              // 000000015DAC: 0B3D3D14
	v_mul_f32_e32 v159, v20, v159                              // 000000015DB0: 0B3F3F14
	v_mul_f32_dpp v144, v248, v144 quad_perm:[0,0,0,0] row_mask:0xf bank_mask:0xf// 000000015DB4: 0B2120FA FF0000F8
	v_mul_f32_dpp v145, v248, v145 quad_perm:[1,1,1,1] row_mask:0xf bank_mask:0xf// 000000015DBC: 0B2322FA FF0055F8
	v_mul_f32_dpp v146, v248, v146 quad_perm:[2,2,2,2] row_mask:0xf bank_mask:0xf// 000000015DC4: 0B2524FA FF00AAF8
	v_mul_f32_dpp v147, v248, v147 quad_perm:[3,3,3,3] row_mask:0xf bank_mask:0xf// 000000015DCC: 0B2726FA FF00FFF8
	v_mul_f32_dpp v148, v249, v148 quad_perm:[0,0,0,0] row_mask:0xf bank_mask:0xf// 000000015DD4: 0B2928FA FF0000F9
	v_mul_f32_dpp v149, v249, v149 quad_perm:[1,1,1,1] row_mask:0xf bank_mask:0xf// 000000015DDC: 0B2B2AFA FF0055F9
	v_mul_f32_dpp v150, v249, v150 quad_perm:[2,2,2,2] row_mask:0xf bank_mask:0xf// 000000015DE4: 0B2D2CFA FF00AAF9
	v_mul_f32_dpp v151, v249, v151 quad_perm:[3,3,3,3] row_mask:0xf bank_mask:0xf// 000000015DEC: 0B2F2EFA FF00FFF9
	v_mul_f32_dpp v152, v250, v152 quad_perm:[0,0,0,0] row_mask:0xf bank_mask:0xf// 000000015DF4: 0B3130FA FF0000FA
	v_mul_f32_dpp v153, v250, v153 quad_perm:[1,1,1,1] row_mask:0xf bank_mask:0xf// 000000015DFC: 0B3332FA FF0055FA
	v_mul_f32_dpp v154, v250, v154 quad_perm:[2,2,2,2] row_mask:0xf bank_mask:0xf// 000000015E04: 0B3534FA FF00AAFA
	v_mul_f32_dpp v155, v250, v155 quad_perm:[3,3,3,3] row_mask:0xf bank_mask:0xf// 000000015E0C: 0B3736FA FF00FFFA
	v_mul_f32_dpp v156, v251, v156 quad_perm:[0,0,0,0] row_mask:0xf bank_mask:0xf// 000000015E14: 0B3938FA FF0000FB
	v_mul_f32_dpp v157, v251, v157 quad_perm:[1,1,1,1] row_mask:0xf bank_mask:0xf// 000000015E1C: 0B3B3AFA FF0055FB
	v_mul_f32_dpp v158, v251, v158 quad_perm:[2,2,2,2] row_mask:0xf bank_mask:0xf// 000000015E24: 0B3D3CFA FF00AAFB
	v_mul_f32_dpp v159, v251, v159 quad_perm:[3,3,3,3] row_mask:0xf bank_mask:0xf// 000000015E2C: 0B3F3EFA FF00FFFB
	v_mov_b32_e32 v48, v144                                    // 000000015E34: 7E600390
	v_max3_f32 v48, v144, v145, v48                            // 000000015E38: D1D30030 04C32390
	v_max3_f32 v48, v146, v147, v48                            // 000000015E40: D1D30030 04C32792
	v_max3_f32 v48, v148, v149, v48                            // 000000015E48: D1D30030 04C32B94
	v_max3_f32 v48, v150, v151, v48                            // 000000015E50: D1D30030 04C32F96
	v_max3_f32 v48, v152, v153, v48                            // 000000015E58: D1D30030 04C33398
	v_max3_f32 v48, v154, v155, v48                            // 000000015E60: D1D30030 04C3379A
	v_max3_f32 v48, v156, v157, v48                            // 000000015E68: D1D30030 04C33B9C
	v_max3_f32 v48, v158, v159, v48                            // 000000015E70: D1D30030 04C33F9E
	ds_write_b32 v8, v48 offset:16896                          // 000000015E78: D81A4200 00003008
	v_mul_f32_e32 v224, v51, v224                              // 000000015E80: 0BC1C133
	v_mul_f32_e32 v225, v51, v225                              // 000000015E84: 0BC3C333
	v_mul_f32_e32 v226, v51, v226                              // 000000015E88: 0BC5C533
	v_mul_f32_e32 v227, v51, v227                              // 000000015E8C: 0BC7C733
	v_mul_f32_e32 v228, v51, v228                              // 000000015E90: 0BC9C933
	v_mul_f32_e32 v229, v51, v229                              // 000000015E94: 0BCBCB33
	v_mul_f32_e32 v230, v51, v230                              // 000000015E98: 0BCDCD33
	v_mul_f32_e32 v231, v51, v231                              // 000000015E9C: 0BCFCF33
	s_waitcnt lgkmcnt(0)                                       // 000000015EA0: BF8CC07F
	s_barrier                                                  // 000000015EA4: BF8A0000
	ds_read_b32 v64, v7 offset:16896                           // 000000015EA8: D86C4200 40000007
	ds_read_b32 v65, v7 offset:16960                           // 000000015EB0: D86C4240 41000007
	ds_read_b32 v66, v7 offset:17024                           // 000000015EB8: D86C4280 42000007
	ds_read_b32 v67, v7 offset:17088                           // 000000015EC0: D86C42C0 43000007
	ds_read_b32 v68, v7 offset:17152                           // 000000015EC8: D86C4300 44000007
	ds_read_b32 v69, v7 offset:17216                           // 000000015ED0: D86C4340 45000007
	ds_read_b32 v70, v7 offset:17280                           // 000000015ED8: D86C4380 46000007
	ds_read_b32 v71, v7 offset:17344                           // 000000015EE0: D86C43C0 47000007
	ds_read_b32 v72, v7 offset:17408                           // 000000015EE8: D86C4400 48000007
	ds_read_b32 v73, v7 offset:17472                           // 000000015EF0: D86C4440 49000007
	ds_read_b32 v74, v7 offset:17536                           // 000000015EF8: D86C4480 4A000007
	ds_read_b32 v75, v7 offset:17600                           // 000000015F00: D86C44C0 4B000007
	ds_read_b32 v76, v7 offset:17664                           // 000000015F08: D86C4500 4C000007
	ds_read_b32 v77, v7 offset:17728                           // 000000015F10: D86C4540 4D000007
	ds_read_b32 v78, v7 offset:17792                           // 000000015F18: D86C4580 4E000007
	ds_read_b32 v79, v7 offset:17856                           // 000000015F20: D86C45C0 4F000007
	v_cvt_f32_i32_e32 v192, v192                               // 000000015F28: 7F800BC0
	v_cvt_f32_i32_e32 v193, v193                               // 000000015F2C: 7F820BC1
	v_cvt_f32_i32_e32 v194, v194                               // 000000015F30: 7F840BC2
	v_cvt_f32_i32_e32 v195, v195                               // 000000015F34: 7F860BC3
	v_cvt_f32_i32_e32 v196, v196                               // 000000015F38: 7F880BC4
	v_cvt_f32_i32_e32 v197, v197                               // 000000015F3C: 7F8A0BC5
	v_cvt_f32_i32_e32 v198, v198                               // 000000015F40: 7F8C0BC6
	v_cvt_f32_i32_e32 v199, v199                               // 000000015F44: 7F8E0BC7
	v_mul_f32_e32 v192, v46, v192                              // 000000015F48: 0B81812E
	v_mul_f32_e32 v193, v46, v193                              // 000000015F4C: 0B83832E
	v_mul_f32_e32 v194, v46, v194                              // 000000015F50: 0B85852E
	v_mul_f32_e32 v195, v46, v195                              // 000000015F54: 0B87872E
	v_mul_f32_e32 v196, v46, v196                              // 000000015F58: 0B89892E
	v_mul_f32_e32 v197, v46, v197                              // 000000015F5C: 0B8B8B2E
	v_mul_f32_e32 v198, v46, v198                              // 000000015F60: 0B8D8D2E
	v_mul_f32_e32 v199, v46, v199                              // 000000015F64: 0B8F8F2E
	s_waitcnt lgkmcnt(0)                                       // 000000015F68: BF8CC07F
	v_max3_f32 v48, v64, v65, v48                              // 000000015F6C: D1D30030 04C28340
	v_max3_f32 v48, v66, v67, v48                              // 000000015F74: D1D30030 04C28742
	v_max3_f32 v48, v68, v69, v48                              // 000000015F7C: D1D30030 04C28B44
	v_max3_f32 v48, v70, v71, v48                              // 000000015F84: D1D30030 04C28F46
	v_max3_f32 v48, v72, v73, v48                              // 000000015F8C: D1D30030 04C29348
	v_max3_f32 v48, v74, v75, v48                              // 000000015F94: D1D30030 04C2974A
	v_max3_f32 v48, v76, v77, v48                              // 000000015F9C: D1D30030 04C29B4C
	v_max3_f32 v48, v78, v79, v48                              // 000000015FA4: D1D30030 04C29F4E
	v_mov_b32_e32 v64, 0xff800000                              // 000000015FAC: 7E8002FF FF800000
	v_cmp_eq_u32_e64 s[40:41], v64, v13                        // 000000015FB4: D0CA0028 00021B40
	s_nop 1                                                    // 000000015FBC: BF800001
	v_max_f32_e32 v15, v48, v13                                // 000000015FC0: 161E1B30
	v_mul_f32_e32 v53, s64, v15                                // 000000015FC4: 0A6A1E40
	v_fma_f32 v144, v144, s64, -v53                            // 000000015FC8: D1CB0090 84D48190
	v_fma_f32 v145, v145, s64, -v53                            // 000000015FD0: D1CB0091 84D48191
	v_fma_f32 v146, v146, s64, -v53                            // 000000015FD8: D1CB0092 84D48192
	v_fma_f32 v147, v147, s64, -v53                            // 000000015FE0: D1CB0093 84D48193
	v_fma_f32 v148, v148, s64, -v53                            // 000000015FE8: D1CB0094 84D48194
	v_fma_f32 v149, v149, s64, -v53                            // 000000015FF0: D1CB0095 84D48195
	v_fma_f32 v150, v150, s64, -v53                            // 000000015FF8: D1CB0096 84D48196
	v_fma_f32 v151, v151, s64, -v53                            // 000000016000: D1CB0097 84D48197
	v_fma_f32 v152, v152, s64, -v53                            // 000000016008: D1CB0098 84D48198
	v_fma_f32 v153, v153, s64, -v53                            // 000000016010: D1CB0099 84D48199
	v_fma_f32 v154, v154, s64, -v53                            // 000000016018: D1CB009A 84D4819A
	v_fma_f32 v155, v155, s64, -v53                            // 000000016020: D1CB009B 84D4819B
	v_fma_f32 v156, v156, s64, -v53                            // 000000016028: D1CB009C 84D4819C
	v_fma_f32 v157, v157, s64, -v53                            // 000000016030: D1CB009D 84D4819D
	v_fma_f32 v158, v158, s64, -v53                            // 000000016038: D1CB009E 84D4819E
	v_fma_f32 v159, v159, s64, -v53                            // 000000016040: D1CB009F 84D4819F
	v_exp_f32_e32 v144, v144                                   // 000000016048: 7F204190
	v_exp_f32_e32 v145, v145                                   // 00000001604C: 7F224191
	v_exp_f32_e32 v146, v146                                   // 000000016050: 7F244192
	v_exp_f32_e32 v147, v147                                   // 000000016054: 7F264193
	v_exp_f32_e32 v148, v148                                   // 000000016058: 7F284194
	v_exp_f32_e32 v149, v149                                   // 00000001605C: 7F2A4195
	v_exp_f32_e32 v150, v150                                   // 000000016060: 7F2C4196
	v_exp_f32_e32 v151, v151                                   // 000000016064: 7F2E4197
	v_exp_f32_e32 v152, v152                                   // 000000016068: 7F304198
	v_exp_f32_e32 v153, v153                                   // 00000001606C: 7F324199
	v_exp_f32_e32 v154, v154                                   // 000000016070: 7F34419A
	v_exp_f32_e32 v155, v155                                   // 000000016074: 7F36419B
	v_exp_f32_e32 v156, v156                                   // 000000016078: 7F38419C
	v_exp_f32_e32 v157, v157                                   // 00000001607C: 7F3A419D
	v_exp_f32_e32 v158, v158                                   // 000000016080: 7F3C419E
	v_exp_f32_e32 v159, v159                                   // 000000016084: 7F3E419F
	v_mul_f32_dpp v240, v252, v144 quad_perm:[0,0,0,0] row_mask:0xf bank_mask:0xf// 000000016088: 0BE120FA FF0000FC
	v_mul_f32_dpp v241, v252, v145 quad_perm:[1,1,1,1] row_mask:0xf bank_mask:0xf// 000000016090: 0BE322FA FF0055FC
	v_mul_f32_dpp v242, v252, v146 quad_perm:[2,2,2,2] row_mask:0xf bank_mask:0xf// 000000016098: 0BE524FA FF00AAFC
	v_mul_f32_dpp v243, v252, v147 quad_perm:[3,3,3,3] row_mask:0xf bank_mask:0xf// 0000000160A0: 0BE726FA FF00FFFC
	v_mul_f32_dpp v244, v253, v148 quad_perm:[0,0,0,0] row_mask:0xf bank_mask:0xf// 0000000160A8: 0BE928FA FF0000FD
	v_mul_f32_dpp v245, v253, v149 quad_perm:[1,1,1,1] row_mask:0xf bank_mask:0xf// 0000000160B0: 0BEB2AFA FF0055FD
	v_mul_f32_dpp v246, v253, v150 quad_perm:[2,2,2,2] row_mask:0xf bank_mask:0xf// 0000000160B8: 0BED2CFA FF00AAFD
	v_mul_f32_dpp v247, v253, v151 quad_perm:[3,3,3,3] row_mask:0xf bank_mask:0xf// 0000000160C0: 0BEF2EFA FF00FFFD
	v_mul_f32_dpp v248, v254, v152 quad_perm:[0,0,0,0] row_mask:0xf bank_mask:0xf// 0000000160C8: 0BF130FA FF0000FE
	v_mul_f32_dpp v249, v254, v153 quad_perm:[1,1,1,1] row_mask:0xf bank_mask:0xf// 0000000160D0: 0BF332FA FF0055FE
	v_mul_f32_dpp v250, v254, v154 quad_perm:[2,2,2,2] row_mask:0xf bank_mask:0xf// 0000000160D8: 0BF534FA FF00AAFE
	v_mul_f32_dpp v251, v254, v155 quad_perm:[3,3,3,3] row_mask:0xf bank_mask:0xf// 0000000160E0: 0BF736FA FF00FFFE
	v_mul_f32_dpp v252, v255, v156 quad_perm:[0,0,0,0] row_mask:0xf bank_mask:0xf// 0000000160E8: 0BF938FA FF0000FF
	v_mul_f32_dpp v253, v255, v157 quad_perm:[1,1,1,1] row_mask:0xf bank_mask:0xf// 0000000160F0: 0BFB3AFA FF0055FF
	v_mul_f32_dpp v254, v255, v158 quad_perm:[2,2,2,2] row_mask:0xf bank_mask:0xf// 0000000160F8: 0BFD3CFA FF00AAFF
	v_mul_f32_dpp v255, v255, v159 quad_perm:[3,3,3,3] row_mask:0xf bank_mask:0xf// 000000016100: 0BFF3EFA FF00FFFF
	v_mov_b32_e32 v48, 0x358637bd                              // 000000016108: 7E6002FF 358637BD
	v_max3_f32 v48, |v240|, |v241|, v48                        // 000000016110: D1D30330 04C3E3F0
	v_max3_f32 v48, |v242|, |v243|, v48                        // 000000016118: D1D30330 04C3E7F2
	v_max3_f32 v48, |v244|, |v245|, v48                        // 000000016120: D1D30330 04C3EBF4
	v_max3_f32 v48, |v246|, |v247|, v48                        // 000000016128: D1D30330 04C3EFF6
	v_max3_f32 v48, |v248|, |v249|, v48                        // 000000016130: D1D30330 04C3F3F8
	v_max3_f32 v48, |v250|, |v251|, v48                        // 000000016138: D1D30330 04C3F7FA
	v_max3_f32 v48, |v252|, |v253|, v48                        // 000000016140: D1D30330 04C3FBFC
	v_max3_f32 v48, |v254|, |v255|, v48                        // 000000016148: D1D30330 04C3FFFE
	ds_write_b32 v8, v48 offset:20992                          // 000000016150: D81A5200 00003008
	v_sub_f32_e32 v51, v13, v15                                // 000000016158: 04661F0D
	v_cndmask_b32_e64 v51, v51, 0, s[40:41]                    // 00000001615C: D1000033 00A10133
	v_mov_b32_e32 v13, v15                                     // 000000016164: 7E1A030F
	v_mul_f32_e32 v51, s64, v51                                // 000000016168: 0A666640
	v_exp_f32_e32 v51, v51                                     // 00000001616C: 7E664133
	s_waitcnt lgkmcnt(0)                                       // 000000016170: BF8CC07F
	s_barrier                                                  // 000000016174: BF8A0000
	ds_read_b32 v64, v7 offset:20992                           // 000000016178: D86C5200 40000007
	ds_read_b32 v65, v7 offset:21056                           // 000000016180: D86C5240 41000007
	ds_read_b32 v66, v7 offset:21120                           // 000000016188: D86C5280 42000007
	ds_read_b32 v67, v7 offset:21184                           // 000000016190: D86C52C0 43000007
	ds_read_b32 v68, v7 offset:21248                           // 000000016198: D86C5300 44000007
	ds_read_b32 v69, v7 offset:21312                           // 0000000161A0: D86C5340 45000007
	ds_read_b32 v70, v7 offset:21376                           // 0000000161A8: D86C5380 46000007
	ds_read_b32 v71, v7 offset:21440                           // 0000000161B0: D86C53C0 47000007
	ds_read_b32 v72, v7 offset:21504                           // 0000000161B8: D86C5400 48000007
	ds_read_b32 v73, v7 offset:21568                           // 0000000161C0: D86C5440 49000007
	ds_read_b32 v74, v7 offset:21632                           // 0000000161C8: D86C5480 4A000007
	ds_read_b32 v75, v7 offset:21696                           // 0000000161D0: D86C54C0 4B000007
	ds_read_b32 v76, v7 offset:21760                           // 0000000161D8: D86C5500 4C000007
	ds_read_b32 v77, v7 offset:21824                           // 0000000161E0: D86C5540 4D000007
	ds_read_b32 v78, v7 offset:21888                           // 0000000161E8: D86C5580 4E000007
	ds_read_b32 v79, v7 offset:21952                           // 0000000161F0: D86C55C0 4F000007
	v_mul_f32_e32 v40, v51, v40                                // 0000000161F8: 0A505133
	v_mov_b32_e32 v15, v144                                    // 0000000161FC: 7E1E0390
	v_add_f32_e32 v15, v145, v15                               // 000000016200: 021E1F91
	v_add_f32_e32 v15, v146, v15                               // 000000016204: 021E1F92
	v_add_f32_e32 v15, v147, v15                               // 000000016208: 021E1F93
	v_add_f32_e32 v15, v148, v15                               // 00000001620C: 021E1F94
	v_add_f32_e32 v15, v149, v15                               // 000000016210: 021E1F95
	v_add_f32_e32 v15, v150, v15                               // 000000016214: 021E1F96
	v_add_f32_e32 v15, v151, v15                               // 000000016218: 021E1F97
	v_add_f32_e32 v15, v152, v15                               // 00000001621C: 021E1F98
	v_add_f32_e32 v15, v153, v15                               // 000000016220: 021E1F99
	v_add_f32_e32 v15, v154, v15                               // 000000016224: 021E1F9A
	v_add_f32_e32 v15, v155, v15                               // 000000016228: 021E1F9B
	v_add_f32_e32 v15, v156, v15                               // 00000001622C: 021E1F9C
	v_add_f32_e32 v15, v157, v15                               // 000000016230: 021E1F9D
	v_add_f32_e32 v15, v158, v15                               // 000000016234: 021E1F9E
	v_add_f32_e32 v15, v159, v15                               // 000000016238: 021E1F9F
	v_add_f32_e32 v40, v15, v40                                // 00000001623C: 0250510F
	s_waitcnt lgkmcnt(0)                                       // 000000016240: BF8CC07F
	v_max3_f32 v48, |v64|, |v65|, v48                          // 000000016244: D1D30330 04C28340
	v_max3_f32 v48, |v66|, |v67|, v48                          // 00000001624C: D1D30330 04C28742
	v_max3_f32 v48, |v68|, |v69|, v48                          // 000000016254: D1D30330 04C28B44
	v_max3_f32 v48, |v70|, |v71|, v48                          // 00000001625C: D1D30330 04C28F46
	v_max3_f32 v48, |v72|, |v73|, v48                          // 000000016264: D1D30330 04C29348
	v_max3_f32 v48, |v74|, |v75|, v48                          // 00000001626C: D1D30330 04C2974A
	v_max3_f32 v48, |v76|, |v77|, v48                          // 000000016274: D1D30330 04C29B4C
	v_max3_f32 v48, |v78|, |v79|, v48                          // 00000001627C: D1D30330 04C29F4E
	s_nop 2                                                    // 000000016284: BF800002
	v_rcp_f32_e32 v48, v48                                     // 000000016288: 7E604530
	s_nop 1                                                    // 00000001628C: BF800001
	v_mul_f32_e32 v48, 0x42fe0000, v48                         // 000000016290: 0A6060FF 42FE0000
	v_mul_f32_e32 v144, v48, v240                              // 000000016298: 0B21E130
	v_mul_f32_e32 v145, v48, v241                              // 00000001629C: 0B23E330
	v_mul_f32_e32 v146, v48, v242                              // 0000000162A0: 0B25E530
	v_mul_f32_e32 v147, v48, v243                              // 0000000162A4: 0B27E730
	v_mul_f32_e32 v148, v48, v244                              // 0000000162A8: 0B29E930
	v_mul_f32_e32 v149, v48, v245                              // 0000000162AC: 0B2BEB30
	v_mul_f32_e32 v150, v48, v246                              // 0000000162B0: 0B2DED30
	v_mul_f32_e32 v151, v48, v247                              // 0000000162B4: 0B2FEF30
	v_mul_f32_e32 v152, v48, v248                              // 0000000162B8: 0B31F130
	v_mul_f32_e32 v153, v48, v249                              // 0000000162BC: 0B33F330
	v_mul_f32_e32 v154, v48, v250                              // 0000000162C0: 0B35F530
	v_mul_f32_e32 v155, v48, v251                              // 0000000162C4: 0B37F730
	v_mul_f32_e32 v156, v48, v252                              // 0000000162C8: 0B39F930
	v_mul_f32_e32 v157, v48, v253                              // 0000000162CC: 0B3BFB30
	v_mul_f32_e32 v158, v48, v254                              // 0000000162D0: 0B3DFD30
	v_mul_f32_e32 v159, v48, v255                              // 0000000162D4: 0B3FFF30
	v_cvt_i32_f32_e32 v144, v144                               // 0000000162D8: 7F201190
	v_cvt_i32_f32_e32 v145, v145                               // 0000000162DC: 7F221191
	v_cvt_i32_f32_e32 v146, v146                               // 0000000162E0: 7F241192
	v_cvt_i32_f32_e32 v147, v147                               // 0000000162E4: 7F261193
	v_cvt_i32_f32_e32 v148, v148                               // 0000000162E8: 7F281194
	v_cvt_i32_f32_e32 v149, v149                               // 0000000162EC: 7F2A1195
	v_cvt_i32_f32_e32 v150, v150                               // 0000000162F0: 7F2C1196
	v_cvt_i32_f32_e32 v151, v151                               // 0000000162F4: 7F2E1197
	v_cvt_i32_f32_e32 v152, v152                               // 0000000162F8: 7F301198
	v_cvt_i32_f32_e32 v153, v153                               // 0000000162FC: 7F321199
	v_cvt_i32_f32_e32 v154, v154                               // 000000016300: 7F34119A
	v_cvt_i32_f32_e32 v155, v155                               // 000000016304: 7F36119B
	v_cvt_i32_f32_e32 v156, v156                               // 000000016308: 7F38119C
	v_cvt_i32_f32_e32 v157, v157                               // 00000001630C: 7F3A119D
	v_cvt_i32_f32_e32 v158, v158                               // 000000016310: 7F3C119E
	v_cvt_i32_f32_e32 v159, v159                               // 000000016314: 7F3E119F
	v_perm_b32 v144, v145, v144, s53                           // 000000016318: D1ED0090 00D72191
	v_perm_b32 v144, v146, v144, s54                           // 000000016320: D1ED0090 00DB2192
	v_perm_b32 v144, v147, v144, s55                           // 000000016328: D1ED0090 00DF2193
	v_perm_b32 v145, v149, v148, s53                           // 000000016330: D1ED0091 00D72995
	v_perm_b32 v145, v150, v145, s54                           // 000000016338: D1ED0091 00DB2396
	v_perm_b32 v145, v151, v145, s55                           // 000000016340: D1ED0091 00DF2397
	v_perm_b32 v146, v153, v152, s53                           // 000000016348: D1ED0092 00D73199
	v_perm_b32 v146, v154, v146, s54                           // 000000016350: D1ED0092 00DB259A
	v_perm_b32 v146, v155, v146, s55                           // 000000016358: D1ED0092 00DF259B
	v_perm_b32 v147, v157, v156, s53                           // 000000016360: D1ED0093 00D7399D
	v_perm_b32 v147, v158, v147, s54                           // 000000016368: D1ED0093 00DB279E
	v_perm_b32 v147, v159, v147, s55                           // 000000016370: D1ED0093 00DF279F
	ds_write_b32 v10, v144 offset:33280                        // 000000016378: D81A8200 0000900A
	ds_write_b32 v10, v145 offset:34304                        // 000000016380: D81A8600 0000910A
	ds_write_b32 v10, v146 offset:35328                        // 000000016388: D81A8A00 0000920A
	ds_write_b32 v10, v147 offset:36352                        // 000000016390: D81A8E00 0000930A
	v_add_f32_e32 v224, v224, v192                             // 000000016398: 03C181E0
	v_add_f32_e32 v225, v225, v193                             // 00000001639C: 03C383E1
	v_add_f32_e32 v226, v226, v194                             // 0000000163A0: 03C585E2
	v_add_f32_e32 v227, v227, v195                             // 0000000163A4: 03C787E3
	v_add_f32_e32 v228, v228, v196                             // 0000000163A8: 03C989E4
	v_add_f32_e32 v229, v229, v197                             // 0000000163AC: 03CB8BE5
	v_add_f32_e32 v230, v230, v198                             // 0000000163B0: 03CD8DE6
	v_add_f32_e32 v231, v231, v199                             // 0000000163B4: 03CF8FE7
	v_rcp_f32_e32 v46, v48                                     // 0000000163B8: 7E5C4530
	s_waitcnt lgkmcnt(0)                                       // 0000000163BC: BF8CC07F
	s_barrier                                                  // 0000000163C0: BF8A0000
	ds_read_b64 v[144:145], v9 offset:33280                    // 0000000163C4: D8EC8200 90000009
	ds_read_b64 v[146:147], v9 offset:33408                    // 0000000163CC: D8EC8280 92000009
	ds_read_b64 v[148:149], v9 offset:34304                    // 0000000163D4: D8EC8600 94000009
	ds_read_b64 v[150:151], v9 offset:34432                    // 0000000163DC: D8EC8680 96000009
	ds_read_b64 v[152:153], v9 offset:35328                    // 0000000163E4: D8EC8A00 98000009
	ds_read_b64 v[154:155], v9 offset:35456                    // 0000000163EC: D8EC8A80 9A000009
	ds_read_b64 v[156:157], v9 offset:36352                    // 0000000163F4: D8EC8E00 9C000009
	ds_read_b64 v[158:159], v9 offset:36480                    // 0000000163FC: D8EC8E80 9E000009
	s_waitcnt vmcnt(15)                                        // 000000016404: BF8C0F7F
	v_mfma_i32_16x16x32_i8 v[176:179], a[96:97], v[112:113], 0 // 000000016408: D3D700B0 0A02E160
	buffer_load_dwordx4 a[80:83], v30, s[20:23], 0 offen offset:1024// 000000016410: E05C1400 8085501E
	v_mfma_i32_16x16x32_i8 v[176:179], a[98:99], v[114:115], v[176:179]// 000000016418: D3D700B0 0EC2E562
	v_mfma_i32_16x16x32_i8 v[176:179], a[100:101], v[116:117], v[176:179]// 000000016420: D3D700B0 0EC2E964
	v_mfma_i32_16x16x32_i8 v[176:179], a[102:103], v[118:119], v[176:179]// 000000016428: D3D700B0 0EC2ED66
	v_mfma_i32_16x16x32_i8 v[176:179], a[104:105], v[120:121], v[176:179]// 000000016430: D3D700B0 0EC2F168
	buffer_load_dwordx4 a[84:87], v31, s[20:23], 0 offen offset:1024// 000000016438: E05C1400 8085541F
	v_mfma_i32_16x16x32_i8 v[176:179], a[106:107], v[122:123], v[176:179]// 000000016440: D3D700B0 0EC2F56A
	v_mfma_i32_16x16x32_i8 v[176:179], a[108:109], v[124:125], v[176:179]// 000000016448: D3D700B0 0EC2F96C
	v_mfma_i32_16x16x32_i8 v[176:179], a[110:111], v[126:127], v[176:179]// 000000016450: D3D700B0 0EC2FD6E
	v_mfma_i32_16x16x32_i8 v[180:183], a[112:113], v[112:113], 0// 000000016458: D3D700B4 0A02E170
	buffer_load_dwordx4 a[88:91], v32, s[20:23], 0 offen offset:1024// 000000016460: E05C1400 80855820
	v_mfma_i32_16x16x32_i8 v[180:183], a[114:115], v[114:115], v[180:183]// 000000016468: D3D700B4 0ED2E572
	v_mfma_i32_16x16x32_i8 v[180:183], a[116:117], v[116:117], v[180:183]// 000000016470: D3D700B4 0ED2E974
	v_mfma_i32_16x16x32_i8 v[180:183], a[118:119], v[118:119], v[180:183]// 000000016478: D3D700B4 0ED2ED76
	v_mfma_i32_16x16x32_i8 v[180:183], a[120:121], v[120:121], v[180:183]// 000000016480: D3D700B4 0ED2F178
	buffer_load_dwordx4 a[92:95], v33, s[20:23], 0 offen offset:1024// 000000016488: E05C1400 80855C21
	v_mfma_i32_16x16x32_i8 v[180:183], a[122:123], v[122:123], v[180:183]// 000000016490: D3D700B4 0ED2F57A
	v_mfma_i32_16x16x32_i8 v[180:183], a[124:125], v[124:125], v[180:183]// 000000016498: D3D700B4 0ED2F97C
	s_lshr_b32 s57, s70, 4                                     // 0000000164A0: 8F398446
	s_add_u32 s57, 48, s57                                     // 0000000164A4: 803939B0
	v_mfma_i32_16x16x32_i8 v[180:183], a[126:127], v[126:127], v[180:183]// 0000000164A8: D3D700B4 0ED2FD7E
	s_cmp_ge_u32 s57, s73                                      // 0000000164B0: BF094939
	s_cselect_b32 s56, 0, s56                                  // 0000000164B4: 85383880
	v_mfma_i32_16x16x32_i8 v[184:187], a[96:97], v[128:129], 0 // 0000000164B8: D3D700B8 0A030160
	v_mfma_i32_16x16x32_i8 v[184:187], a[98:99], v[130:131], v[184:187]// 0000000164C0: D3D700B8 0EE30562
	v_mfma_i32_16x16x32_i8 v[184:187], a[100:101], v[132:133], v[184:187]// 0000000164C8: D3D700B8 0EE30964
	v_mfma_i32_16x16x32_i8 v[184:187], a[102:103], v[134:135], v[184:187]// 0000000164D0: D3D700B8 0EE30D66
	v_mfma_i32_16x16x32_i8 v[184:187], a[104:105], v[136:137], v[184:187]// 0000000164D8: D3D700B8 0EE31168
	v_mfma_i32_16x16x32_i8 v[184:187], a[106:107], v[138:139], v[184:187]// 0000000164E0: D3D700B8 0EE3156A
	v_mfma_i32_16x16x32_i8 v[184:187], a[108:109], v[140:141], v[184:187]// 0000000164E8: D3D700B8 0EE3196C
	v_mfma_i32_16x16x32_i8 v[184:187], a[110:111], v[142:143], v[184:187]// 0000000164F0: D3D700B8 0EE31D6E
	v_mfma_i32_16x16x32_i8 v[188:191], a[112:113], v[128:129], 0// 0000000164F8: D3D700BC 0A030170
	v_mfma_i32_16x16x32_i8 v[188:191], a[114:115], v[130:131], v[188:191]// 000000016500: D3D700BC 0EF30572
	v_mfma_i32_16x16x32_i8 v[188:191], a[116:117], v[132:133], v[188:191]// 000000016508: D3D700BC 0EF30974
	v_mfma_i32_16x16x32_i8 v[188:191], a[118:119], v[134:135], v[188:191]// 000000016510: D3D700BC 0EF30D76
	v_mfma_i32_16x16x32_i8 v[188:191], a[120:121], v[136:137], v[188:191]// 000000016518: D3D700BC 0EF31178
	v_mfma_i32_16x16x32_i8 v[188:191], a[122:123], v[138:139], v[188:191]// 000000016520: D3D700BC 0EF3157A
	v_mfma_i32_16x16x32_i8 v[188:191], a[124:125], v[140:141], v[188:191]// 000000016528: D3D700BC 0EF3197C
	v_mfma_i32_16x16x32_i8 v[188:191], a[126:127], v[142:143], v[188:191]// 000000016530: D3D700BC 0EF31D7E
	v_mfma_i32_16x16x32_i8 v[192:195], a[96:97], v[144:145], 0 // 000000016538: D3D700C0 0A032160
	v_mfma_i32_16x16x32_i8 v[192:195], a[98:99], v[146:147], v[192:195]// 000000016540: D3D700C0 0F032562
	v_mfma_i32_16x16x32_i8 v[192:195], a[100:101], v[148:149], v[192:195]// 000000016548: D3D700C0 0F032964
	v_mfma_i32_16x16x32_i8 v[192:195], a[102:103], v[150:151], v[192:195]// 000000016550: D3D700C0 0F032D66
	v_mfma_i32_16x16x32_i8 v[192:195], a[104:105], v[152:153], v[192:195]// 000000016558: D3D700C0 0F033168
	v_mfma_i32_16x16x32_i8 v[192:195], a[106:107], v[154:155], v[192:195]// 000000016560: D3D700C0 0F03356A
	v_mfma_i32_16x16x32_i8 v[192:195], a[108:109], v[156:157], v[192:195]// 000000016568: D3D700C0 0F03396C
	v_mfma_i32_16x16x32_i8 v[192:195], a[110:111], v[158:159], v[192:195]// 000000016570: D3D700C0 0F033D6E
	v_mfma_i32_16x16x32_i8 v[196:199], a[112:113], v[144:145], 0// 000000016578: D3D700C4 0A032170
	v_mfma_i32_16x16x32_i8 v[196:199], a[114:115], v[146:147], v[196:199]// 000000016580: D3D700C4 0F132572
	v_mfma_i32_16x16x32_i8 v[196:199], a[116:117], v[148:149], v[196:199]// 000000016588: D3D700C4 0F132974
	v_mfma_i32_16x16x32_i8 v[196:199], a[118:119], v[150:151], v[196:199]// 000000016590: D3D700C4 0F132D76
	v_mfma_i32_16x16x32_i8 v[196:199], a[120:121], v[152:153], v[196:199]// 000000016598: D3D700C4 0F133178
	v_mfma_i32_16x16x32_i8 v[196:199], a[122:123], v[154:155], v[196:199]// 0000000165A0: D3D700C4 0F13357A
	v_mfma_i32_16x16x32_i8 v[196:199], a[124:125], v[156:157], v[196:199]// 0000000165A8: D3D700C4 0F13397C
	v_mfma_i32_16x16x32_i8 v[196:199], a[126:127], v[158:159], v[196:199]// 0000000165B0: D3D700C4 0F133D7E
	v_add_u32_e32 v1, s56, v1                                  // 0000000165B8: 68020238
	s_addk_i32 s70, 0x100                                      // 0000000165BC: B7460100
	s_cmp_lt_i32 s70, s71                                      // 0000000165C0: BF044746
	s_cbranch_scc0 label_4363                                  // 0000000165C4: BF84F271
	s_branch label_4366                                        // 0000000165C8: BF82F273

00000000000165cc <label_50F3>:
	s_lshr_b32 s60, s71, 4                                     // 0000000165CC: 8F3C8447
	s_cmp_eq_i32 s60, s73                                      // 0000000165D0: BF00493C
	s_cbranch_scc1 label_6096                                  // 0000000165D4: BF850FA0
	s_lshr_b32 s60, s71, 8                                     // 0000000165D8: 8F3C8847
	s_and_b32 s60, s60, 1                                      // 0000000165DC: 863C813C
	s_cmp_eq_i32 s60, 1                                        // 0000000165E0: BF00813C
	s_cbranch_scc1 label_58C8                                  // 0000000165E4: BF8507CE
	s_waitcnt vmcnt(8) lgkmcnt(0)                              // 0000000165E8: BF8C0078
	s_barrier                                                  // 0000000165EC: BF8A0000
	v_mfma_i32_16x16x32_i8 v[112:115], a[0:1], v[80:81], 0     // 0000000165F0: D3D70070 0A02A100
	v_mfma_i32_16x16x32_i8 v[112:115], a[2:3], v[82:83], v[112:115]// 0000000165F8: D3D70070 0DC2A502
	v_mfma_i32_16x16x32_i8 v[112:115], a[4:5], v[84:85], v[112:115]// 000000016600: D3D70070 0DC2A904
	v_mfma_i32_16x16x32_i8 v[112:115], a[6:7], v[86:87], v[112:115]// 000000016608: D3D70070 0DC2AD06
	v_mfma_i32_16x16x32_i8 v[116:119], a[8:9], v[80:81], 0     // 000000016610: D3D70074 0A02A108
	v_mfma_i32_16x16x32_i8 v[116:119], a[10:11], v[82:83], v[116:119]// 000000016618: D3D70074 0DD2A50A
	v_mfma_i32_16x16x32_i8 v[116:119], a[12:13], v[84:85], v[116:119]// 000000016620: D3D70074 0DD2A90C
	v_mfma_i32_16x16x32_i8 v[116:119], a[14:15], v[86:87], v[116:119]// 000000016628: D3D70074 0DD2AD0E
	v_mfma_i32_16x16x32_i8 v[120:123], a[16:17], v[80:81], 0   // 000000016630: D3D70078 0A02A110
	v_mfma_i32_16x16x32_i8 v[120:123], a[18:19], v[82:83], v[120:123]// 000000016638: D3D70078 0DE2A512
	v_mfma_i32_16x16x32_i8 v[120:123], a[20:21], v[84:85], v[120:123]// 000000016640: D3D70078 0DE2A914
	v_mfma_i32_16x16x32_i8 v[120:123], a[22:23], v[86:87], v[120:123]// 000000016648: D3D70078 0DE2AD16
	v_mfma_i32_16x16x32_i8 v[124:127], a[24:25], v[80:81], 0   // 000000016650: D3D7007C 0A02A118
	v_mfma_i32_16x16x32_i8 v[124:127], a[26:27], v[82:83], v[124:127]// 000000016658: D3D7007C 0DF2A51A
	v_mfma_i32_16x16x32_i8 v[124:127], a[28:29], v[84:85], v[124:127]// 000000016660: D3D7007C 0DF2A91C
	v_mfma_i32_16x16x32_i8 v[124:127], a[30:31], v[86:87], v[124:127]// 000000016668: D3D7007C 0DF2AD1E
	v_mfma_i32_16x16x32_i8 v[128:131], a[0:1], v[88:89], 0     // 000000016670: D3D70080 0A02B100
	v_mfma_i32_16x16x32_i8 v[128:131], a[2:3], v[90:91], v[128:131]// 000000016678: D3D70080 0E02B502
	v_mfma_i32_16x16x32_i8 v[128:131], a[4:5], v[92:93], v[128:131]// 000000016680: D3D70080 0E02B904
	v_mfma_i32_16x16x32_i8 v[128:131], a[6:7], v[94:95], v[128:131]// 000000016688: D3D70080 0E02BD06
	v_mfma_i32_16x16x32_i8 v[132:135], a[8:9], v[88:89], 0     // 000000016690: D3D70084 0A02B108
	v_mfma_i32_16x16x32_i8 v[132:135], a[10:11], v[90:91], v[132:135]// 000000016698: D3D70084 0E12B50A
	v_mfma_i32_16x16x32_i8 v[132:135], a[12:13], v[92:93], v[132:135]// 0000000166A0: D3D70084 0E12B90C
	v_mfma_i32_16x16x32_i8 v[132:135], a[14:15], v[94:95], v[132:135]// 0000000166A8: D3D70084 0E12BD0E
	v_mfma_i32_16x16x32_i8 v[136:139], a[16:17], v[88:89], 0   // 0000000166B0: D3D70088 0A02B110
	v_mfma_i32_16x16x32_i8 v[136:139], a[18:19], v[90:91], v[136:139]// 0000000166B8: D3D70088 0E22B512
	v_mfma_i32_16x16x32_i8 v[136:139], a[20:21], v[92:93], v[136:139]// 0000000166C0: D3D70088 0E22B914
	v_mfma_i32_16x16x32_i8 v[136:139], a[22:23], v[94:95], v[136:139]// 0000000166C8: D3D70088 0E22BD16
	v_mfma_i32_16x16x32_i8 v[140:143], a[24:25], v[88:89], 0   // 0000000166D0: D3D7008C 0A02B118
	v_mfma_i32_16x16x32_i8 v[140:143], a[26:27], v[90:91], v[140:143]// 0000000166D8: D3D7008C 0E32B51A
	v_mfma_i32_16x16x32_i8 v[140:143], a[28:29], v[92:93], v[140:143]// 0000000166E0: D3D7008C 0E32B91C
	v_mfma_i32_16x16x32_i8 v[140:143], a[30:31], v[94:95], v[140:143]// 0000000166E8: D3D7008C 0E32BD1E
	v_mfma_i32_16x16x32_i8 v[144:147], a[0:1], v[96:97], 0     // 0000000166F0: D3D70090 0A02C100
	v_mfma_i32_16x16x32_i8 v[144:147], a[2:3], v[98:99], v[144:147]// 0000000166F8: D3D70090 0E42C502
	v_mfma_i32_16x16x32_i8 v[144:147], a[4:5], v[100:101], v[144:147]// 000000016700: D3D70090 0E42C904
	v_mfma_i32_16x16x32_i8 v[144:147], a[6:7], v[102:103], v[144:147]// 000000016708: D3D70090 0E42CD06
	v_mfma_i32_16x16x32_i8 v[148:151], a[8:9], v[96:97], 0     // 000000016710: D3D70094 0A02C108
	v_mfma_i32_16x16x32_i8 v[148:151], a[10:11], v[98:99], v[148:151]// 000000016718: D3D70094 0E52C50A
	v_mfma_i32_16x16x32_i8 v[148:151], a[12:13], v[100:101], v[148:151]// 000000016720: D3D70094 0E52C90C
	v_mfma_i32_16x16x32_i8 v[148:151], a[14:15], v[102:103], v[148:151]// 000000016728: D3D70094 0E52CD0E
	v_mfma_i32_16x16x32_i8 v[152:155], a[16:17], v[96:97], 0   // 000000016730: D3D70098 0A02C110
	v_mfma_i32_16x16x32_i8 v[152:155], a[18:19], v[98:99], v[152:155]// 000000016738: D3D70098 0E62C512
	v_mfma_i32_16x16x32_i8 v[152:155], a[20:21], v[100:101], v[152:155]// 000000016740: D3D70098 0E62C914
	v_mfma_i32_16x16x32_i8 v[152:155], a[22:23], v[102:103], v[152:155]// 000000016748: D3D70098 0E62CD16
	v_mfma_i32_16x16x32_i8 v[156:159], a[24:25], v[96:97], 0   // 000000016750: D3D7009C 0A02C118
	v_mfma_i32_16x16x32_i8 v[156:159], a[26:27], v[98:99], v[156:159]// 000000016758: D3D7009C 0E72C51A
	v_mfma_i32_16x16x32_i8 v[156:159], a[28:29], v[100:101], v[156:159]// 000000016760: D3D7009C 0E72C91C
	v_mfma_i32_16x16x32_i8 v[156:159], a[30:31], v[102:103], v[156:159]// 000000016768: D3D7009C 0E72CD1E
	v_mov_b32_dpp v64, v42 row_shr:4 row_mask:0xf bank_mask:0xf// 000000016770: 7E8002FA FF01142A
	v_mov_b32_dpp v65, v42 row_shl:4 row_mask:0xf bank_mask:0xf// 000000016778: 7E8202FA FF01042A
	v_cndmask_b32_e64 v248, v42, v64, s[44:45]                 // 000000016780: D10000F8 00B2812A
	v_cndmask_b32_e64 v249, v65, v42, s[44:45]                 // 000000016788: D10000F9 00B25541
	v_mov_b32_dpp v64, v248 row_shr:8 row_mask:0xf bank_mask:0xf// 000000016790: 7E8002FA FF0118F8
	v_mov_b32_dpp v65, v248 row_shl:8 row_mask:0xf bank_mask:0xf// 000000016798: 7E8202FA FF0108F8
	v_mov_b32_dpp v66, v249 row_shr:8 row_mask:0xf bank_mask:0xf// 0000000167A0: 7E8402FA FF0118F9
	v_mov_b32_dpp v67, v249 row_shl:8 row_mask:0xf bank_mask:0xf// 0000000167A8: 7E8602FA FF0108F9
	v_mov_b32_e32 v68, v248                                    // 0000000167B0: 7E8803F8
	v_mov_b32_e32 v69, v249                                    // 0000000167B4: 7E8A03F9
	v_cndmask_b32_e64 v248, v68, v64, s[42:43]                 // 0000000167B8: D10000F8 00AA8144
	v_cndmask_b32_e64 v250, v68, v65, s[78:79]                 // 0000000167C0: D10000FA 013A8344
	v_cndmask_b32_e64 v249, v69, v66, s[42:43]                 // 0000000167C8: D10000F9 00AA8545
	v_cndmask_b32_e64 v251, v69, v67, s[78:79]                 // 0000000167D0: D10000FB 013A8745
	v_mov_b32_dpp v64, v57 row_shr:4 row_mask:0xf bank_mask:0xf// 0000000167D8: 7E8002FA FF011439
	v_mov_b32_dpp v65, v57 row_shl:4 row_mask:0xf bank_mask:0xf// 0000000167E0: 7E8202FA FF010439
	v_cndmask_b32_e64 v252, v57, v64, s[44:45]                 // 0000000167E8: D10000FC 00B28139
	v_cndmask_b32_e64 v253, v65, v57, s[44:45]                 // 0000000167F0: D10000FD 00B27341
	v_mov_b32_dpp v64, v252 row_shr:8 row_mask:0xf bank_mask:0xf// 0000000167F8: 7E8002FA FF0118FC
	v_mov_b32_dpp v65, v252 row_shl:8 row_mask:0xf bank_mask:0xf// 000000016800: 7E8202FA FF0108FC
	v_mov_b32_dpp v66, v253 row_shr:8 row_mask:0xf bank_mask:0xf// 000000016808: 7E8402FA FF0118FD
	v_mov_b32_dpp v67, v253 row_shl:8 row_mask:0xf bank_mask:0xf// 000000016810: 7E8602FA FF0108FD
	v_mov_b32_e32 v68, v252                                    // 000000016818: 7E8803FC
	v_mov_b32_e32 v69, v253                                    // 00000001681C: 7E8A03FD
	v_cndmask_b32_e64 v252, v68, v64, s[42:43]                 // 000000016820: D10000FC 00AA8144
	v_cndmask_b32_e64 v254, v68, v65, s[78:79]                 // 000000016828: D10000FE 013A8344
	v_cndmask_b32_e64 v253, v69, v66, s[42:43]                 // 000000016830: D10000FD 00AA8545
	v_cndmask_b32_e64 v255, v69, v67, s[78:79]                 // 000000016838: D10000FF 013A8745
	v_cvt_f32_i32_e32 v112, v112                               // 000000016840: 7EE00B70
	v_cvt_f32_i32_e32 v113, v113                               // 000000016844: 7EE20B71
	v_cvt_f32_i32_e32 v114, v114                               // 000000016848: 7EE40B72
	v_cvt_f32_i32_e32 v115, v115                               // 00000001684C: 7EE60B73
	v_cvt_f32_i32_e32 v116, v116                               // 000000016850: 7EE80B74
	v_cvt_f32_i32_e32 v117, v117                               // 000000016854: 7EEA0B75
	v_cvt_f32_i32_e32 v118, v118                               // 000000016858: 7EEC0B76
	v_cvt_f32_i32_e32 v119, v119                               // 00000001685C: 7EEE0B77
	v_cvt_f32_i32_e32 v120, v120                               // 000000016860: 7EF00B78
	v_cvt_f32_i32_e32 v121, v121                               // 000000016864: 7EF20B79
	v_cvt_f32_i32_e32 v122, v122                               // 000000016868: 7EF40B7A
	v_cvt_f32_i32_e32 v123, v123                               // 00000001686C: 7EF60B7B
	v_cvt_f32_i32_e32 v124, v124                               // 000000016870: 7EF80B7C
	v_cvt_f32_i32_e32 v125, v125                               // 000000016874: 7EFA0B7D
	v_cvt_f32_i32_e32 v126, v126                               // 000000016878: 7EFC0B7E
	v_cvt_f32_i32_e32 v127, v127                               // 00000001687C: 7EFE0B7F
	v_mul_f32_e32 v112, v18, v112                              // 000000016880: 0AE0E112
	v_mul_f32_e32 v113, v18, v113                              // 000000016884: 0AE2E312
	v_mul_f32_e32 v114, v18, v114                              // 000000016888: 0AE4E512
	v_mul_f32_e32 v115, v18, v115                              // 00000001688C: 0AE6E712
	v_mul_f32_e32 v116, v18, v116                              // 000000016890: 0AE8E912
	v_mul_f32_e32 v117, v18, v117                              // 000000016894: 0AEAEB12
	v_mul_f32_e32 v118, v18, v118                              // 000000016898: 0AECED12
	v_mul_f32_e32 v119, v18, v119                              // 00000001689C: 0AEEEF12
	v_mul_f32_e32 v120, v18, v120                              // 0000000168A0: 0AF0F112
	v_mul_f32_e32 v121, v18, v121                              // 0000000168A4: 0AF2F312
	v_mul_f32_e32 v122, v18, v122                              // 0000000168A8: 0AF4F512
	v_mul_f32_e32 v123, v18, v123                              // 0000000168AC: 0AF6F712
	v_mul_f32_e32 v124, v18, v124                              // 0000000168B0: 0AF8F912
	v_mul_f32_e32 v125, v18, v125                              // 0000000168B4: 0AFAFB12
	v_mul_f32_e32 v126, v18, v126                              // 0000000168B8: 0AFCFD12
	v_mul_f32_e32 v127, v18, v127                              // 0000000168BC: 0AFEFF12
	v_mul_f32_dpp v112, v248, v112 quad_perm:[0,0,0,0] row_mask:0xf bank_mask:0xf// 0000000168C0: 0AE0E0FA FF0000F8
	v_mul_f32_dpp v113, v248, v113 quad_perm:[1,1,1,1] row_mask:0xf bank_mask:0xf// 0000000168C8: 0AE2E2FA FF0055F8
	v_mul_f32_dpp v114, v248, v114 quad_perm:[2,2,2,2] row_mask:0xf bank_mask:0xf// 0000000168D0: 0AE4E4FA FF00AAF8
	v_mul_f32_dpp v115, v248, v115 quad_perm:[3,3,3,3] row_mask:0xf bank_mask:0xf// 0000000168D8: 0AE6E6FA FF00FFF8
	v_mul_f32_dpp v116, v249, v116 quad_perm:[0,0,0,0] row_mask:0xf bank_mask:0xf// 0000000168E0: 0AE8E8FA FF0000F9
	v_mul_f32_dpp v117, v249, v117 quad_perm:[1,1,1,1] row_mask:0xf bank_mask:0xf// 0000000168E8: 0AEAEAFA FF0055F9
	v_mul_f32_dpp v118, v249, v118 quad_perm:[2,2,2,2] row_mask:0xf bank_mask:0xf// 0000000168F0: 0AECECFA FF00AAF9
	v_mul_f32_dpp v119, v249, v119 quad_perm:[3,3,3,3] row_mask:0xf bank_mask:0xf// 0000000168F8: 0AEEEEFA FF00FFF9
	v_mul_f32_dpp v120, v250, v120 quad_perm:[0,0,0,0] row_mask:0xf bank_mask:0xf// 000000016900: 0AF0F0FA FF0000FA
	v_mul_f32_dpp v121, v250, v121 quad_perm:[1,1,1,1] row_mask:0xf bank_mask:0xf// 000000016908: 0AF2F2FA FF0055FA
	v_mul_f32_dpp v122, v250, v122 quad_perm:[2,2,2,2] row_mask:0xf bank_mask:0xf// 000000016910: 0AF4F4FA FF00AAFA
	v_mul_f32_dpp v123, v250, v123 quad_perm:[3,3,3,3] row_mask:0xf bank_mask:0xf// 000000016918: 0AF6F6FA FF00FFFA
	v_mul_f32_dpp v124, v251, v124 quad_perm:[0,0,0,0] row_mask:0xf bank_mask:0xf// 000000016920: 0AF8F8FA FF0000FB
	v_mul_f32_dpp v125, v251, v125 quad_perm:[1,1,1,1] row_mask:0xf bank_mask:0xf// 000000016928: 0AFAFAFA FF0055FB
	v_mul_f32_dpp v126, v251, v126 quad_perm:[2,2,2,2] row_mask:0xf bank_mask:0xf// 000000016930: 0AFCFCFA FF00AAFB
	v_mul_f32_dpp v127, v251, v127 quad_perm:[3,3,3,3] row_mask:0xf bank_mask:0xf// 000000016938: 0AFEFEFA FF00FFFB
	s_and_b32 s60, s72, 0xff                                   // 000000016940: 863CFF48 000000FF
	v_mov_b32_e32 v65, s60                                     // 000000016948: 7E82023C
	v_lshrrev_b32_e32 v240, 4, v0                              // 00000001694C: 21E00084
	v_mul_i32_i24_e32 v240, 4, v240                            // 000000016950: 0DE1E084
	s_mul_i32 s60, s7, 16                                      // 000000016954: 923C9007
	v_add_u32_e32 v240, s60, v240                              // 000000016958: 69E1E03C
	v_add_u32_e32 v241, 1, v240                                // 00000001695C: 69E3E081
	v_add_u32_e32 v242, 2, v240                                // 000000016960: 69E5E082
	v_add_u32_e32 v243, 3, v240                                // 000000016964: 69E7E083
	v_mov_b32_e32 v64, 0xff800000                              // 000000016968: 7E8002FF FF800000
	v_cmp_lt_u32_e64 s[40:41], v240, v65                       // 000000016970: D0C90028 000283F0
	v_add_u32_e32 v240, 64, v240                               // 000000016978: 69E1E0C0
	s_nop 0                                                    // 00000001697C: BF800000
	v_cndmask_b32_e64 v112, v64, v112, s[40:41]                // 000000016980: D1000070 00A2E140
	v_cmp_lt_u32_e64 s[40:41], v241, v65                       // 000000016988: D0C90028 000283F1
	v_add_u32_e32 v241, 64, v241                               // 000000016990: 69E3E2C0
	s_nop 0                                                    // 000000016994: BF800000
	v_cndmask_b32_e64 v113, v64, v113, s[40:41]                // 000000016998: D1000071 00A2E340
	v_cmp_lt_u32_e64 s[40:41], v242, v65                       // 0000000169A0: D0C90028 000283F2
	v_add_u32_e32 v242, 64, v242                               // 0000000169A8: 69E5E4C0
	s_nop 0                                                    // 0000000169AC: BF800000
	v_cndmask_b32_e64 v114, v64, v114, s[40:41]                // 0000000169B0: D1000072 00A2E540
	v_cmp_lt_u32_e64 s[40:41], v243, v65                       // 0000000169B8: D0C90028 000283F3
	v_add_u32_e32 v243, 64, v243                               // 0000000169C0: 69E7E6C0
	s_nop 0                                                    // 0000000169C4: BF800000
	v_cndmask_b32_e64 v115, v64, v115, s[40:41]                // 0000000169C8: D1000073 00A2E740
	v_cmp_lt_u32_e64 s[40:41], v240, v65                       // 0000000169D0: D0C90028 000283F0
	v_add_u32_e32 v240, 64, v240                               // 0000000169D8: 69E1E0C0
	s_nop 0                                                    // 0000000169DC: BF800000
	v_cndmask_b32_e64 v116, v64, v116, s[40:41]                // 0000000169E0: D1000074 00A2E940
	v_cmp_lt_u32_e64 s[40:41], v241, v65                       // 0000000169E8: D0C90028 000283F1
	v_add_u32_e32 v241, 64, v241                               // 0000000169F0: 69E3E2C0
	s_nop 0                                                    // 0000000169F4: BF800000
	v_cndmask_b32_e64 v117, v64, v117, s[40:41]                // 0000000169F8: D1000075 00A2EB40
	v_cmp_lt_u32_e64 s[40:41], v242, v65                       // 000000016A00: D0C90028 000283F2
	v_add_u32_e32 v242, 64, v242                               // 000000016A08: 69E5E4C0
	s_nop 0                                                    // 000000016A0C: BF800000
	v_cndmask_b32_e64 v118, v64, v118, s[40:41]                // 000000016A10: D1000076 00A2ED40
	v_cmp_lt_u32_e64 s[40:41], v243, v65                       // 000000016A18: D0C90028 000283F3
	v_add_u32_e32 v243, 64, v243                               // 000000016A20: 69E7E6C0
	s_nop 0                                                    // 000000016A24: BF800000
	v_cndmask_b32_e64 v119, v64, v119, s[40:41]                // 000000016A28: D1000077 00A2EF40
	v_cmp_lt_u32_e64 s[40:41], v240, v65                       // 000000016A30: D0C90028 000283F0
	v_add_u32_e32 v240, 64, v240                               // 000000016A38: 69E1E0C0
	s_nop 0                                                    // 000000016A3C: BF800000
	v_cndmask_b32_e64 v120, v64, v120, s[40:41]                // 000000016A40: D1000078 00A2F140
	v_cmp_lt_u32_e64 s[40:41], v241, v65                       // 000000016A48: D0C90028 000283F1
	v_add_u32_e32 v241, 64, v241                               // 000000016A50: 69E3E2C0
	s_nop 0                                                    // 000000016A54: BF800000
	v_cndmask_b32_e64 v121, v64, v121, s[40:41]                // 000000016A58: D1000079 00A2F340
	v_cmp_lt_u32_e64 s[40:41], v242, v65                       // 000000016A60: D0C90028 000283F2
	v_add_u32_e32 v242, 64, v242                               // 000000016A68: 69E5E4C0
	s_nop 0                                                    // 000000016A6C: BF800000
	v_cndmask_b32_e64 v122, v64, v122, s[40:41]                // 000000016A70: D100007A 00A2F540
	v_cmp_lt_u32_e64 s[40:41], v243, v65                       // 000000016A78: D0C90028 000283F3
	v_add_u32_e32 v243, 64, v243                               // 000000016A80: 69E7E6C0
	s_nop 0                                                    // 000000016A84: BF800000
	v_cndmask_b32_e64 v123, v64, v123, s[40:41]                // 000000016A88: D100007B 00A2F740
	v_cmp_lt_u32_e64 s[40:41], v240, v65                       // 000000016A90: D0C90028 000283F0
	v_add_u32_e32 v240, 64, v240                               // 000000016A98: 69E1E0C0
	s_nop 0                                                    // 000000016A9C: BF800000
	v_cndmask_b32_e64 v124, v64, v124, s[40:41]                // 000000016AA0: D100007C 00A2F940
	v_cmp_lt_u32_e64 s[40:41], v241, v65                       // 000000016AA8: D0C90028 000283F1
	v_add_u32_e32 v241, 64, v241                               // 000000016AB0: 69E3E2C0
	s_nop 0                                                    // 000000016AB4: BF800000
	v_cndmask_b32_e64 v125, v64, v125, s[40:41]                // 000000016AB8: D100007D 00A2FB40
	v_cmp_lt_u32_e64 s[40:41], v242, v65                       // 000000016AC0: D0C90028 000283F2
	v_add_u32_e32 v242, 64, v242                               // 000000016AC8: 69E5E4C0
	s_nop 0                                                    // 000000016ACC: BF800000
	v_cndmask_b32_e64 v126, v64, v126, s[40:41]                // 000000016AD0: D100007E 00A2FD40
	v_cmp_lt_u32_e64 s[40:41], v243, v65                       // 000000016AD8: D0C90028 000283F3
	v_add_u32_e32 v243, 64, v243                               // 000000016AE0: 69E7E6C0
	s_nop 0                                                    // 000000016AE4: BF800000
	v_cndmask_b32_e64 v127, v64, v127, s[40:41]                // 000000016AE8: D100007F 00A2FF40
	v_mov_b32_e32 v48, v112                                    // 000000016AF0: 7E600370
	v_max3_f32 v48, v112, v113, v48                            // 000000016AF4: D1D30030 04C2E370
	v_max3_f32 v48, v114, v115, v48                            // 000000016AFC: D1D30030 04C2E772
	v_max3_f32 v48, v116, v117, v48                            // 000000016B04: D1D30030 04C2EB74
	v_max3_f32 v48, v118, v119, v48                            // 000000016B0C: D1D30030 04C2EF76
	v_max3_f32 v48, v120, v121, v48                            // 000000016B14: D1D30030 04C2F378
	v_max3_f32 v48, v122, v123, v48                            // 000000016B1C: D1D30030 04C2F77A
	v_max3_f32 v48, v124, v125, v48                            // 000000016B24: D1D30030 04C2FB7C
	v_max3_f32 v48, v126, v127, v48                            // 000000016B2C: D1D30030 04C2FF7E
	ds_write_b32 v8, v48 offset:16896                          // 000000016B34: D81A4200 00003008
	v_mul_u32_u24_dpp v64, v17, v54 row_newbcast:1 row_mask:0xf bank_mask:0xf// 000000016B3C: 10806CFA FF015111
	v_mul_u32_u24_dpp v65, v17, v54 row_newbcast:5 row_mask:0xf bank_mask:0xf// 000000016B44: 10826CFA FF015511
	v_mul_u32_u24_dpp v66, v17, v54 row_newbcast:9 row_mask:0xf bank_mask:0xf// 000000016B4C: 10846CFA FF015911
	v_mul_u32_u24_dpp v67, v17, v54 row_newbcast:13 row_mask:0xf bank_mask:0xf// 000000016B54: 10866CFA FF015D11
	v_add_u32_e32 v34, v64, v6                                 // 000000016B5C: 68440D40
	v_add_u32_e32 v35, v65, v6                                 // 000000016B60: 68460D41
	v_add_u32_e32 v36, v66, v6                                 // 000000016B64: 68480D42
	v_add_u32_e32 v37, v67, v6                                 // 000000016B68: 684A0D43
	v_mul_f32_e32 v208, v49, v208                              // 000000016B6C: 0BA1A131
	v_mul_f32_e32 v209, v49, v209                              // 000000016B70: 0BA3A331
	v_mul_f32_e32 v210, v49, v210                              // 000000016B74: 0BA5A531
	v_mul_f32_e32 v211, v49, v211                              // 000000016B78: 0BA7A731
	v_mul_f32_e32 v212, v49, v212                              // 000000016B7C: 0BA9A931
	v_mul_f32_e32 v213, v49, v213                              // 000000016B80: 0BABAB31
	v_mul_f32_e32 v214, v49, v214                              // 000000016B84: 0BADAD31
	v_mul_f32_e32 v215, v49, v215                              // 000000016B88: 0BAFAF31
	s_waitcnt lgkmcnt(0)                                       // 000000016B8C: BF8CC07F
	s_barrier                                                  // 000000016B90: BF8A0000
	ds_read_b32 v64, v7 offset:16896                           // 000000016B94: D86C4200 40000007
	ds_read_b32 v65, v7 offset:16960                           // 000000016B9C: D86C4240 41000007
	ds_read_b32 v66, v7 offset:17024                           // 000000016BA4: D86C4280 42000007
	ds_read_b32 v67, v7 offset:17088                           // 000000016BAC: D86C42C0 43000007
	ds_read_b32 v68, v7 offset:17152                           // 000000016BB4: D86C4300 44000007
	ds_read_b32 v69, v7 offset:17216                           // 000000016BBC: D86C4340 45000007
	ds_read_b32 v70, v7 offset:17280                           // 000000016BC4: D86C4380 46000007
	ds_read_b32 v71, v7 offset:17344                           // 000000016BCC: D86C43C0 47000007
	ds_read_b32 v72, v7 offset:17408                           // 000000016BD4: D86C4400 48000007
	ds_read_b32 v73, v7 offset:17472                           // 000000016BDC: D86C4440 49000007
	ds_read_b32 v74, v7 offset:17536                           // 000000016BE4: D86C4480 4A000007
	ds_read_b32 v75, v7 offset:17600                           // 000000016BEC: D86C44C0 4B000007
	ds_read_b32 v76, v7 offset:17664                           // 000000016BF4: D86C4500 4C000007
	ds_read_b32 v77, v7 offset:17728                           // 000000016BFC: D86C4540 4D000007
	ds_read_b32 v78, v7 offset:17792                           // 000000016C04: D86C4580 4E000007
	ds_read_b32 v79, v7 offset:17856                           // 000000016C0C: D86C45C0 4F000007
	v_cvt_f32_i32_e32 v176, v176                               // 000000016C14: 7F600BB0
	v_cvt_f32_i32_e32 v177, v177                               // 000000016C18: 7F620BB1
	v_cvt_f32_i32_e32 v178, v178                               // 000000016C1C: 7F640BB2
	v_cvt_f32_i32_e32 v179, v179                               // 000000016C20: 7F660BB3
	v_cvt_f32_i32_e32 v180, v180                               // 000000016C24: 7F680BB4
	v_cvt_f32_i32_e32 v181, v181                               // 000000016C28: 7F6A0BB5
	v_cvt_f32_i32_e32 v182, v182                               // 000000016C2C: 7F6C0BB6
	v_cvt_f32_i32_e32 v183, v183                               // 000000016C30: 7F6E0BB7
	v_mul_f32_e32 v176, v44, v176                              // 000000016C34: 0B61612C
	v_mul_f32_e32 v177, v44, v177                              // 000000016C38: 0B63632C
	v_mul_f32_e32 v178, v44, v178                              // 000000016C3C: 0B65652C
	v_mul_f32_e32 v179, v44, v179                              // 000000016C40: 0B67672C
	v_mul_f32_e32 v180, v44, v180                              // 000000016C44: 0B69692C
	v_mul_f32_e32 v181, v44, v181                              // 000000016C48: 0B6B6B2C
	v_mul_f32_e32 v182, v44, v182                              // 000000016C4C: 0B6D6D2C
	v_mul_f32_e32 v183, v44, v183                              // 000000016C50: 0B6F6F2C
	s_waitcnt lgkmcnt(0)                                       // 000000016C54: BF8CC07F
	v_max3_f32 v48, v64, v65, v48                              // 000000016C58: D1D30030 04C28340
	v_max3_f32 v48, v66, v67, v48                              // 000000016C60: D1D30030 04C28742
	v_max3_f32 v48, v68, v69, v48                              // 000000016C68: D1D30030 04C28B44
	v_max3_f32 v48, v70, v71, v48                              // 000000016C70: D1D30030 04C28F46
	v_max3_f32 v48, v72, v73, v48                              // 000000016C78: D1D30030 04C29348
	v_max3_f32 v48, v74, v75, v48                              // 000000016C80: D1D30030 04C2974A
	v_max3_f32 v48, v76, v77, v48                              // 000000016C88: D1D30030 04C29B4C
	v_max3_f32 v48, v78, v79, v48                              // 000000016C90: D1D30030 04C29F4E
	v_mov_b32_e32 v64, 0xff800000                              // 000000016C98: 7E8002FF FF800000
	v_cmp_eq_u32_e64 s[40:41], v64, v11                        // 000000016CA0: D0CA0028 00021740
	s_nop 1                                                    // 000000016CA8: BF800001
	v_max_f32_e32 v15, v48, v11                                // 000000016CAC: 161E1730
	v_mul_f32_e32 v53, s64, v15                                // 000000016CB0: 0A6A1E40
	v_fma_f32 v112, v112, s64, -v53                            // 000000016CB4: D1CB0070 84D48170
	v_fma_f32 v113, v113, s64, -v53                            // 000000016CBC: D1CB0071 84D48171
	v_fma_f32 v114, v114, s64, -v53                            // 000000016CC4: D1CB0072 84D48172
	v_fma_f32 v115, v115, s64, -v53                            // 000000016CCC: D1CB0073 84D48173
	v_fma_f32 v116, v116, s64, -v53                            // 000000016CD4: D1CB0074 84D48174
	v_fma_f32 v117, v117, s64, -v53                            // 000000016CDC: D1CB0075 84D48175
	v_fma_f32 v118, v118, s64, -v53                            // 000000016CE4: D1CB0076 84D48176
	v_fma_f32 v119, v119, s64, -v53                            // 000000016CEC: D1CB0077 84D48177
	v_fma_f32 v120, v120, s64, -v53                            // 000000016CF4: D1CB0078 84D48178
	v_fma_f32 v121, v121, s64, -v53                            // 000000016CFC: D1CB0079 84D48179
	v_fma_f32 v122, v122, s64, -v53                            // 000000016D04: D1CB007A 84D4817A
	v_fma_f32 v123, v123, s64, -v53                            // 000000016D0C: D1CB007B 84D4817B
	v_fma_f32 v124, v124, s64, -v53                            // 000000016D14: D1CB007C 84D4817C
	v_fma_f32 v125, v125, s64, -v53                            // 000000016D1C: D1CB007D 84D4817D
	v_fma_f32 v126, v126, s64, -v53                            // 000000016D24: D1CB007E 84D4817E
	v_fma_f32 v127, v127, s64, -v53                            // 000000016D2C: D1CB007F 84D4817F
	v_exp_f32_e32 v112, v112                                   // 000000016D34: 7EE04170
	v_exp_f32_e32 v113, v113                                   // 000000016D38: 7EE24171
	v_exp_f32_e32 v114, v114                                   // 000000016D3C: 7EE44172
	v_exp_f32_e32 v115, v115                                   // 000000016D40: 7EE64173
	v_exp_f32_e32 v116, v116                                   // 000000016D44: 7EE84174
	v_exp_f32_e32 v117, v117                                   // 000000016D48: 7EEA4175
	v_exp_f32_e32 v118, v118                                   // 000000016D4C: 7EEC4176
	v_exp_f32_e32 v119, v119                                   // 000000016D50: 7EEE4177
	v_exp_f32_e32 v120, v120                                   // 000000016D54: 7EF04178
	v_exp_f32_e32 v121, v121                                   // 000000016D58: 7EF24179
	v_exp_f32_e32 v122, v122                                   // 000000016D5C: 7EF4417A
	v_exp_f32_e32 v123, v123                                   // 000000016D60: 7EF6417B
	v_exp_f32_e32 v124, v124                                   // 000000016D64: 7EF8417C
	v_exp_f32_e32 v125, v125                                   // 000000016D68: 7EFA417D
	v_exp_f32_e32 v126, v126                                   // 000000016D6C: 7EFC417E
	v_exp_f32_e32 v127, v127                                   // 000000016D70: 7EFE417F
	v_mul_f32_dpp v240, v252, v112 quad_perm:[0,0,0,0] row_mask:0xf bank_mask:0xf// 000000016D74: 0BE0E0FA FF0000FC
	v_mul_f32_dpp v241, v252, v113 quad_perm:[1,1,1,1] row_mask:0xf bank_mask:0xf// 000000016D7C: 0BE2E2FA FF0055FC
	v_mul_f32_dpp v242, v252, v114 quad_perm:[2,2,2,2] row_mask:0xf bank_mask:0xf// 000000016D84: 0BE4E4FA FF00AAFC
	v_mul_f32_dpp v243, v252, v115 quad_perm:[3,3,3,3] row_mask:0xf bank_mask:0xf// 000000016D8C: 0BE6E6FA FF00FFFC
	v_mul_f32_dpp v244, v253, v116 quad_perm:[0,0,0,0] row_mask:0xf bank_mask:0xf// 000000016D94: 0BE8E8FA FF0000FD
	v_mul_f32_dpp v245, v253, v117 quad_perm:[1,1,1,1] row_mask:0xf bank_mask:0xf// 000000016D9C: 0BEAEAFA FF0055FD
	v_mul_f32_dpp v246, v253, v118 quad_perm:[2,2,2,2] row_mask:0xf bank_mask:0xf// 000000016DA4: 0BECECFA FF00AAFD
	v_mul_f32_dpp v247, v253, v119 quad_perm:[3,3,3,3] row_mask:0xf bank_mask:0xf// 000000016DAC: 0BEEEEFA FF00FFFD
	v_mul_f32_dpp v248, v254, v120 quad_perm:[0,0,0,0] row_mask:0xf bank_mask:0xf// 000000016DB4: 0BF0F0FA FF0000FE
	v_mul_f32_dpp v249, v254, v121 quad_perm:[1,1,1,1] row_mask:0xf bank_mask:0xf// 000000016DBC: 0BF2F2FA FF0055FE
	v_mul_f32_dpp v250, v254, v122 quad_perm:[2,2,2,2] row_mask:0xf bank_mask:0xf// 000000016DC4: 0BF4F4FA FF00AAFE
	v_mul_f32_dpp v251, v254, v123 quad_perm:[3,3,3,3] row_mask:0xf bank_mask:0xf// 000000016DCC: 0BF6F6FA FF00FFFE
	v_mul_f32_dpp v252, v255, v124 quad_perm:[0,0,0,0] row_mask:0xf bank_mask:0xf// 000000016DD4: 0BF8F8FA FF0000FF
	v_mul_f32_dpp v253, v255, v125 quad_perm:[1,1,1,1] row_mask:0xf bank_mask:0xf// 000000016DDC: 0BFAFAFA FF0055FF
	v_mul_f32_dpp v254, v255, v126 quad_perm:[2,2,2,2] row_mask:0xf bank_mask:0xf// 000000016DE4: 0BFCFCFA FF00AAFF
	v_mul_f32_dpp v255, v255, v127 quad_perm:[3,3,3,3] row_mask:0xf bank_mask:0xf// 000000016DEC: 0BFEFEFA FF00FFFF
	v_mov_b32_e32 v48, 0x358637bd                              // 000000016DF4: 7E6002FF 358637BD
	v_max3_f32 v48, |v240|, |v241|, v48                        // 000000016DFC: D1D30330 04C3E3F0
	v_max3_f32 v48, |v242|, |v243|, v48                        // 000000016E04: D1D30330 04C3E7F2
	v_max3_f32 v48, |v244|, |v245|, v48                        // 000000016E0C: D1D30330 04C3EBF4
	v_max3_f32 v48, |v246|, |v247|, v48                        // 000000016E14: D1D30330 04C3EFF6
	v_max3_f32 v48, |v248|, |v249|, v48                        // 000000016E1C: D1D30330 04C3F3F8
	v_max3_f32 v48, |v250|, |v251|, v48                        // 000000016E24: D1D30330 04C3F7FA
	v_max3_f32 v48, |v252|, |v253|, v48                        // 000000016E2C: D1D30330 04C3FBFC
	v_max3_f32 v48, |v254|, |v255|, v48                        // 000000016E34: D1D30330 04C3FFFE
	ds_write_b32 v8, v48 offset:20992                          // 000000016E3C: D81A5200 00003008
	v_sub_f32_e32 v49, v11, v15                                // 000000016E44: 04621F0B
	v_cndmask_b32_e64 v49, v49, 0, s[40:41]                    // 000000016E48: D1000031 00A10131
	v_mov_b32_e32 v11, v15                                     // 000000016E50: 7E16030F
	v_mul_f32_e32 v49, s64, v49                                // 000000016E54: 0A626240
	v_exp_f32_e32 v49, v49                                     // 000000016E58: 7E624131
	s_waitcnt lgkmcnt(0)                                       // 000000016E5C: BF8CC07F
	s_barrier                                                  // 000000016E60: BF8A0000
	ds_read_b32 v64, v7 offset:20992                           // 000000016E64: D86C5200 40000007
	ds_read_b32 v65, v7 offset:21056                           // 000000016E6C: D86C5240 41000007
	ds_read_b32 v66, v7 offset:21120                           // 000000016E74: D86C5280 42000007
	ds_read_b32 v67, v7 offset:21184                           // 000000016E7C: D86C52C0 43000007
	ds_read_b32 v68, v7 offset:21248                           // 000000016E84: D86C5300 44000007
	ds_read_b32 v69, v7 offset:21312                           // 000000016E8C: D86C5340 45000007
	ds_read_b32 v70, v7 offset:21376                           // 000000016E94: D86C5380 46000007
	ds_read_b32 v71, v7 offset:21440                           // 000000016E9C: D86C53C0 47000007
	ds_read_b32 v72, v7 offset:21504                           // 000000016EA4: D86C5400 48000007
	ds_read_b32 v73, v7 offset:21568                           // 000000016EAC: D86C5440 49000007
	ds_read_b32 v74, v7 offset:21632                           // 000000016EB4: D86C5480 4A000007
	ds_read_b32 v75, v7 offset:21696                           // 000000016EBC: D86C54C0 4B000007
	ds_read_b32 v76, v7 offset:21760                           // 000000016EC4: D86C5500 4C000007
	ds_read_b32 v77, v7 offset:21824                           // 000000016ECC: D86C5540 4D000007
	ds_read_b32 v78, v7 offset:21888                           // 000000016ED4: D86C5580 4E000007
	ds_read_b32 v79, v7 offset:21952                           // 000000016EDC: D86C55C0 4F000007
	v_mul_f32_e32 v38, v49, v38                                // 000000016EE4: 0A4C4D31
	v_mov_b32_e32 v15, v112                                    // 000000016EE8: 7E1E0370
	v_add_f32_e32 v15, v113, v15                               // 000000016EEC: 021E1F71
	v_add_f32_e32 v15, v114, v15                               // 000000016EF0: 021E1F72
	v_add_f32_e32 v15, v115, v15                               // 000000016EF4: 021E1F73
	v_add_f32_e32 v15, v116, v15                               // 000000016EF8: 021E1F74
	v_add_f32_e32 v15, v117, v15                               // 000000016EFC: 021E1F75
	v_add_f32_e32 v15, v118, v15                               // 000000016F00: 021E1F76
	v_add_f32_e32 v15, v119, v15                               // 000000016F04: 021E1F77
	v_add_f32_e32 v15, v120, v15                               // 000000016F08: 021E1F78
	v_add_f32_e32 v15, v121, v15                               // 000000016F0C: 021E1F79
	v_add_f32_e32 v15, v122, v15                               // 000000016F10: 021E1F7A
	v_add_f32_e32 v15, v123, v15                               // 000000016F14: 021E1F7B
	v_add_f32_e32 v15, v124, v15                               // 000000016F18: 021E1F7C
	v_add_f32_e32 v15, v125, v15                               // 000000016F1C: 021E1F7D
	v_add_f32_e32 v15, v126, v15                               // 000000016F20: 021E1F7E
	v_add_f32_e32 v15, v127, v15                               // 000000016F24: 021E1F7F
	v_add_f32_e32 v38, v15, v38                                // 000000016F28: 024C4D0F
	s_waitcnt lgkmcnt(0)                                       // 000000016F2C: BF8CC07F
	v_max3_f32 v48, |v64|, |v65|, v48                          // 000000016F30: D1D30330 04C28340
	v_max3_f32 v48, |v66|, |v67|, v48                          // 000000016F38: D1D30330 04C28742
	v_max3_f32 v48, |v68|, |v69|, v48                          // 000000016F40: D1D30330 04C28B44
	v_max3_f32 v48, |v70|, |v71|, v48                          // 000000016F48: D1D30330 04C28F46
	v_max3_f32 v48, |v72|, |v73|, v48                          // 000000016F50: D1D30330 04C29348
	v_max3_f32 v48, |v74|, |v75|, v48                          // 000000016F58: D1D30330 04C2974A
	v_max3_f32 v48, |v76|, |v77|, v48                          // 000000016F60: D1D30330 04C29B4C
	v_max3_f32 v48, |v78|, |v79|, v48                          // 000000016F68: D1D30330 04C29F4E
	s_nop 2                                                    // 000000016F70: BF800002
	v_rcp_f32_e32 v48, v48                                     // 000000016F74: 7E604530
	s_nop 1                                                    // 000000016F78: BF800001
	v_mul_f32_e32 v48, 0x42fe0000, v48                         // 000000016F7C: 0A6060FF 42FE0000
	v_mul_f32_e32 v112, v48, v240                              // 000000016F84: 0AE1E130
	v_mul_f32_e32 v113, v48, v241                              // 000000016F88: 0AE3E330
	v_mul_f32_e32 v114, v48, v242                              // 000000016F8C: 0AE5E530
	v_mul_f32_e32 v115, v48, v243                              // 000000016F90: 0AE7E730
	v_mul_f32_e32 v116, v48, v244                              // 000000016F94: 0AE9E930
	v_mul_f32_e32 v117, v48, v245                              // 000000016F98: 0AEBEB30
	v_mul_f32_e32 v118, v48, v246                              // 000000016F9C: 0AEDED30
	v_mul_f32_e32 v119, v48, v247                              // 000000016FA0: 0AEFEF30
	v_mul_f32_e32 v120, v48, v248                              // 000000016FA4: 0AF1F130
	v_mul_f32_e32 v121, v48, v249                              // 000000016FA8: 0AF3F330
	v_mul_f32_e32 v122, v48, v250                              // 000000016FAC: 0AF5F530
	v_mul_f32_e32 v123, v48, v251                              // 000000016FB0: 0AF7F730
	v_mul_f32_e32 v124, v48, v252                              // 000000016FB4: 0AF9F930
	v_mul_f32_e32 v125, v48, v253                              // 000000016FB8: 0AFBFB30
	v_mul_f32_e32 v126, v48, v254                              // 000000016FBC: 0AFDFD30
	v_mul_f32_e32 v127, v48, v255                              // 000000016FC0: 0AFFFF30
	v_cvt_i32_f32_e32 v112, v112                               // 000000016FC4: 7EE01170
	v_cvt_i32_f32_e32 v113, v113                               // 000000016FC8: 7EE21171
	v_cvt_i32_f32_e32 v114, v114                               // 000000016FCC: 7EE41172
	v_cvt_i32_f32_e32 v115, v115                               // 000000016FD0: 7EE61173
	v_cvt_i32_f32_e32 v116, v116                               // 000000016FD4: 7EE81174
	v_cvt_i32_f32_e32 v117, v117                               // 000000016FD8: 7EEA1175
	v_cvt_i32_f32_e32 v118, v118                               // 000000016FDC: 7EEC1176
	v_cvt_i32_f32_e32 v119, v119                               // 000000016FE0: 7EEE1177
	v_cvt_i32_f32_e32 v120, v120                               // 000000016FE4: 7EF01178
	v_cvt_i32_f32_e32 v121, v121                               // 000000016FE8: 7EF21179
	v_cvt_i32_f32_e32 v122, v122                               // 000000016FEC: 7EF4117A
	v_cvt_i32_f32_e32 v123, v123                               // 000000016FF0: 7EF6117B
	v_cvt_i32_f32_e32 v124, v124                               // 000000016FF4: 7EF8117C
	v_cvt_i32_f32_e32 v125, v125                               // 000000016FF8: 7EFA117D
	v_cvt_i32_f32_e32 v126, v126                               // 000000016FFC: 7EFC117E
	v_cvt_i32_f32_e32 v127, v127                               // 000000017000: 7EFE117F
	v_perm_b32 v112, v113, v112, s53                           // 000000017004: D1ED0070 00D6E171
	v_perm_b32 v112, v114, v112, s54                           // 00000001700C: D1ED0070 00DAE172
	v_perm_b32 v112, v115, v112, s55                           // 000000017014: D1ED0070 00DEE173
	v_perm_b32 v113, v117, v116, s53                           // 00000001701C: D1ED0071 00D6E975
	v_perm_b32 v113, v118, v113, s54                           // 000000017024: D1ED0071 00DAE376
	v_perm_b32 v113, v119, v113, s55                           // 00000001702C: D1ED0071 00DEE377
	v_perm_b32 v114, v121, v120, s53                           // 000000017034: D1ED0072 00D6F179
	v_perm_b32 v114, v122, v114, s54                           // 00000001703C: D1ED0072 00DAE57A
	v_perm_b32 v114, v123, v114, s55                           // 000000017044: D1ED0072 00DEE57B
	v_perm_b32 v115, v125, v124, s53                           // 00000001704C: D1ED0073 00D6F97D
	v_perm_b32 v115, v126, v115, s54                           // 000000017054: D1ED0073 00DAE77E
	v_perm_b32 v115, v127, v115, s55                           // 00000001705C: D1ED0073 00DEE77F
	ds_write_b32 v10, v112 offset:25088                        // 000000017064: D81A6200 0000700A
	ds_write_b32 v10, v113 offset:26112                        // 00000001706C: D81A6600 0000710A
	ds_write_b32 v10, v114 offset:27136                        // 000000017074: D81A6A00 0000720A
	ds_write_b32 v10, v115 offset:28160                        // 00000001707C: D81A6E00 0000730A
	v_add_f32_e32 v208, v208, v176                             // 000000017084: 03A161D0
	v_add_f32_e32 v209, v209, v177                             // 000000017088: 03A363D1
	v_add_f32_e32 v210, v210, v178                             // 00000001708C: 03A565D2
	v_add_f32_e32 v211, v211, v179                             // 000000017090: 03A767D3
	v_add_f32_e32 v212, v212, v180                             // 000000017094: 03A969D4
	v_add_f32_e32 v213, v213, v181                             // 000000017098: 03AB6BD5
	v_add_f32_e32 v214, v214, v182                             // 00000001709C: 03AD6DD6
	v_add_f32_e32 v215, v215, v183                             // 0000000170A0: 03AF6FD7
	v_rcp_f32_e32 v44, v48                                     // 0000000170A4: 7E584530
	s_waitcnt lgkmcnt(0)                                       // 0000000170A8: BF8CC07F
	s_barrier                                                  // 0000000170AC: BF8A0000
	ds_read_b64 v[112:113], v9 offset:25088                    // 0000000170B0: D8EC6200 70000009
	ds_read_b64 v[114:115], v9 offset:25216                    // 0000000170B8: D8EC6280 72000009
	ds_read_b64 v[116:117], v9 offset:26112                    // 0000000170C0: D8EC6600 74000009
	ds_read_b64 v[118:119], v9 offset:26240                    // 0000000170C8: D8EC6680 76000009
	ds_read_b64 v[120:121], v9 offset:27136                    // 0000000170D0: D8EC6A00 78000009
	ds_read_b64 v[122:123], v9 offset:27264                    // 0000000170D8: D8EC6A80 7A000009
	ds_read_b64 v[124:125], v9 offset:28160                    // 0000000170E0: D8EC6E00 7C000009
	ds_read_b64 v[126:127], v9 offset:28288                    // 0000000170E8: D8EC6E80 7E000009
	v_mov_b32_dpp v64, v42 row_shr:4 row_mask:0xf bank_mask:0xf// 0000000170F0: 7E8002FA FF01142A
	v_mov_b32_dpp v65, v42 row_shl:4 row_mask:0xf bank_mask:0xf// 0000000170F8: 7E8202FA FF01042A
	v_cndmask_b32_e64 v248, v42, v64, s[44:45]                 // 000000017100: D10000F8 00B2812A
	v_cndmask_b32_e64 v249, v65, v42, s[44:45]                 // 000000017108: D10000F9 00B25541
	v_mov_b32_dpp v64, v248 row_shr:8 row_mask:0xf bank_mask:0xf// 000000017110: 7E8002FA FF0118F8
	v_mov_b32_dpp v65, v248 row_shl:8 row_mask:0xf bank_mask:0xf// 000000017118: 7E8202FA FF0108F8
	v_mov_b32_dpp v66, v249 row_shr:8 row_mask:0xf bank_mask:0xf// 000000017120: 7E8402FA FF0118F9
	v_mov_b32_dpp v67, v249 row_shl:8 row_mask:0xf bank_mask:0xf// 000000017128: 7E8602FA FF0108F9
	v_mov_b32_e32 v68, v248                                    // 000000017130: 7E8803F8
	v_mov_b32_e32 v69, v249                                    // 000000017134: 7E8A03F9
	v_cndmask_b32_e64 v248, v68, v64, s[42:43]                 // 000000017138: D10000F8 00AA8144
	v_cndmask_b32_e64 v250, v68, v65, s[78:79]                 // 000000017140: D10000FA 013A8344
	v_cndmask_b32_e64 v249, v69, v66, s[42:43]                 // 000000017148: D10000F9 00AA8545
	v_cndmask_b32_e64 v251, v69, v67, s[78:79]                 // 000000017150: D10000FB 013A8745
	v_mov_b32_dpp v64, v57 row_shr:4 row_mask:0xf bank_mask:0xf// 000000017158: 7E8002FA FF011439
	v_mov_b32_dpp v65, v57 row_shl:4 row_mask:0xf bank_mask:0xf// 000000017160: 7E8202FA FF010439
	v_cndmask_b32_e64 v252, v57, v64, s[44:45]                 // 000000017168: D10000FC 00B28139
	v_cndmask_b32_e64 v253, v65, v57, s[44:45]                 // 000000017170: D10000FD 00B27341
	v_mov_b32_dpp v64, v252 row_shr:8 row_mask:0xf bank_mask:0xf// 000000017178: 7E8002FA FF0118FC
	v_mov_b32_dpp v65, v252 row_shl:8 row_mask:0xf bank_mask:0xf// 000000017180: 7E8202FA FF0108FC
	v_mov_b32_dpp v66, v253 row_shr:8 row_mask:0xf bank_mask:0xf// 000000017188: 7E8402FA FF0118FD
	v_mov_b32_dpp v67, v253 row_shl:8 row_mask:0xf bank_mask:0xf// 000000017190: 7E8602FA FF0108FD
	v_mov_b32_e32 v68, v252                                    // 000000017198: 7E8803FC
	v_mov_b32_e32 v69, v253                                    // 00000001719C: 7E8A03FD
	v_cndmask_b32_e64 v252, v68, v64, s[42:43]                 // 0000000171A0: D10000FC 00AA8144
	v_cndmask_b32_e64 v254, v68, v65, s[78:79]                 // 0000000171A8: D10000FE 013A8344
	v_cndmask_b32_e64 v253, v69, v66, s[42:43]                 // 0000000171B0: D10000FD 00AA8545
	v_cndmask_b32_e64 v255, v69, v67, s[78:79]                 // 0000000171B8: D10000FF 013A8745
	v_cvt_f32_i32_e32 v128, v128                               // 0000000171C0: 7F000B80
	v_cvt_f32_i32_e32 v129, v129                               // 0000000171C4: 7F020B81
	v_cvt_f32_i32_e32 v130, v130                               // 0000000171C8: 7F040B82
	v_cvt_f32_i32_e32 v131, v131                               // 0000000171CC: 7F060B83
	v_cvt_f32_i32_e32 v132, v132                               // 0000000171D0: 7F080B84
	v_cvt_f32_i32_e32 v133, v133                               // 0000000171D4: 7F0A0B85
	v_cvt_f32_i32_e32 v134, v134                               // 0000000171D8: 7F0C0B86
	v_cvt_f32_i32_e32 v135, v135                               // 0000000171DC: 7F0E0B87
	v_cvt_f32_i32_e32 v136, v136                               // 0000000171E0: 7F100B88
	v_cvt_f32_i32_e32 v137, v137                               // 0000000171E4: 7F120B89
	v_cvt_f32_i32_e32 v138, v138                               // 0000000171E8: 7F140B8A
	v_cvt_f32_i32_e32 v139, v139                               // 0000000171EC: 7F160B8B
	v_cvt_f32_i32_e32 v140, v140                               // 0000000171F0: 7F180B8C
	v_cvt_f32_i32_e32 v141, v141                               // 0000000171F4: 7F1A0B8D
	v_cvt_f32_i32_e32 v142, v142                               // 0000000171F8: 7F1C0B8E
	v_cvt_f32_i32_e32 v143, v143                               // 0000000171FC: 7F1E0B8F
	v_mul_f32_e32 v128, v19, v128                              // 000000017200: 0B010113
	v_mul_f32_e32 v129, v19, v129                              // 000000017204: 0B030313
	v_mul_f32_e32 v130, v19, v130                              // 000000017208: 0B050513
	v_mul_f32_e32 v131, v19, v131                              // 00000001720C: 0B070713
	v_mul_f32_e32 v132, v19, v132                              // 000000017210: 0B090913
	v_mul_f32_e32 v133, v19, v133                              // 000000017214: 0B0B0B13
	v_mul_f32_e32 v134, v19, v134                              // 000000017218: 0B0D0D13
	v_mul_f32_e32 v135, v19, v135                              // 00000001721C: 0B0F0F13
	v_mul_f32_e32 v136, v19, v136                              // 000000017220: 0B111113
	v_mul_f32_e32 v137, v19, v137                              // 000000017224: 0B131313
	v_mul_f32_e32 v138, v19, v138                              // 000000017228: 0B151513
	v_mul_f32_e32 v139, v19, v139                              // 00000001722C: 0B171713
	v_mul_f32_e32 v140, v19, v140                              // 000000017230: 0B191913
	v_mul_f32_e32 v141, v19, v141                              // 000000017234: 0B1B1B13
	v_mul_f32_e32 v142, v19, v142                              // 000000017238: 0B1D1D13
	v_mul_f32_e32 v143, v19, v143                              // 00000001723C: 0B1F1F13
	v_mul_f32_dpp v128, v248, v128 quad_perm:[0,0,0,0] row_mask:0xf bank_mask:0xf// 000000017240: 0B0100FA FF0000F8
	v_mul_f32_dpp v129, v248, v129 quad_perm:[1,1,1,1] row_mask:0xf bank_mask:0xf// 000000017248: 0B0302FA FF0055F8
	v_mul_f32_dpp v130, v248, v130 quad_perm:[2,2,2,2] row_mask:0xf bank_mask:0xf// 000000017250: 0B0504FA FF00AAF8
	v_mul_f32_dpp v131, v248, v131 quad_perm:[3,3,3,3] row_mask:0xf bank_mask:0xf// 000000017258: 0B0706FA FF00FFF8
	v_mul_f32_dpp v132, v249, v132 quad_perm:[0,0,0,0] row_mask:0xf bank_mask:0xf// 000000017260: 0B0908FA FF0000F9
	v_mul_f32_dpp v133, v249, v133 quad_perm:[1,1,1,1] row_mask:0xf bank_mask:0xf// 000000017268: 0B0B0AFA FF0055F9
	v_mul_f32_dpp v134, v249, v134 quad_perm:[2,2,2,2] row_mask:0xf bank_mask:0xf// 000000017270: 0B0D0CFA FF00AAF9
	v_mul_f32_dpp v135, v249, v135 quad_perm:[3,3,3,3] row_mask:0xf bank_mask:0xf// 000000017278: 0B0F0EFA FF00FFF9
	v_mul_f32_dpp v136, v250, v136 quad_perm:[0,0,0,0] row_mask:0xf bank_mask:0xf// 000000017280: 0B1110FA FF0000FA
	v_mul_f32_dpp v137, v250, v137 quad_perm:[1,1,1,1] row_mask:0xf bank_mask:0xf// 000000017288: 0B1312FA FF0055FA
	v_mul_f32_dpp v138, v250, v138 quad_perm:[2,2,2,2] row_mask:0xf bank_mask:0xf// 000000017290: 0B1514FA FF00AAFA
	v_mul_f32_dpp v139, v250, v139 quad_perm:[3,3,3,3] row_mask:0xf bank_mask:0xf// 000000017298: 0B1716FA FF00FFFA
	v_mul_f32_dpp v140, v251, v140 quad_perm:[0,0,0,0] row_mask:0xf bank_mask:0xf// 0000000172A0: 0B1918FA FF0000FB
	v_mul_f32_dpp v141, v251, v141 quad_perm:[1,1,1,1] row_mask:0xf bank_mask:0xf// 0000000172A8: 0B1B1AFA FF0055FB
	v_mul_f32_dpp v142, v251, v142 quad_perm:[2,2,2,2] row_mask:0xf bank_mask:0xf// 0000000172B0: 0B1D1CFA FF00AAFB
	v_mul_f32_dpp v143, v251, v143 quad_perm:[3,3,3,3] row_mask:0xf bank_mask:0xf// 0000000172B8: 0B1F1EFA FF00FFFB
	s_and_b32 s60, s72, 0xff                                   // 0000000172C0: 863CFF48 000000FF
	v_mov_b32_e32 v65, s60                                     // 0000000172C8: 7E82023C
	v_lshrrev_b32_e32 v240, 4, v0                              // 0000000172CC: 21E00084
	v_mul_i32_i24_e32 v240, 4, v240                            // 0000000172D0: 0DE1E084
	s_mul_i32 s60, s7, 16                                      // 0000000172D4: 923C9007
	v_add_u32_e32 v240, s60, v240                              // 0000000172D8: 69E1E03C
	v_add_u32_e32 v241, 1, v240                                // 0000000172DC: 69E3E081
	v_add_u32_e32 v242, 2, v240                                // 0000000172E0: 69E5E082
	v_add_u32_e32 v243, 3, v240                                // 0000000172E4: 69E7E083
	v_mov_b32_e32 v64, 0xff800000                              // 0000000172E8: 7E8002FF FF800000
	v_cmp_lt_u32_e64 s[40:41], v240, v65                       // 0000000172F0: D0C90028 000283F0
	v_add_u32_e32 v240, 64, v240                               // 0000000172F8: 69E1E0C0
	s_nop 0                                                    // 0000000172FC: BF800000
	v_cndmask_b32_e64 v128, v64, v128, s[40:41]                // 000000017300: D1000080 00A30140
	v_cmp_lt_u32_e64 s[40:41], v241, v65                       // 000000017308: D0C90028 000283F1
	v_add_u32_e32 v241, 64, v241                               // 000000017310: 69E3E2C0
	s_nop 0                                                    // 000000017314: BF800000
	v_cndmask_b32_e64 v129, v64, v129, s[40:41]                // 000000017318: D1000081 00A30340
	v_cmp_lt_u32_e64 s[40:41], v242, v65                       // 000000017320: D0C90028 000283F2
	v_add_u32_e32 v242, 64, v242                               // 000000017328: 69E5E4C0
	s_nop 0                                                    // 00000001732C: BF800000
	v_cndmask_b32_e64 v130, v64, v130, s[40:41]                // 000000017330: D1000082 00A30540
	v_cmp_lt_u32_e64 s[40:41], v243, v65                       // 000000017338: D0C90028 000283F3
	v_add_u32_e32 v243, 64, v243                               // 000000017340: 69E7E6C0
	s_nop 0                                                    // 000000017344: BF800000
	v_cndmask_b32_e64 v131, v64, v131, s[40:41]                // 000000017348: D1000083 00A30740
	v_cmp_lt_u32_e64 s[40:41], v240, v65                       // 000000017350: D0C90028 000283F0
	v_add_u32_e32 v240, 64, v240                               // 000000017358: 69E1E0C0
	s_nop 0                                                    // 00000001735C: BF800000
	v_cndmask_b32_e64 v132, v64, v132, s[40:41]                // 000000017360: D1000084 00A30940
	v_cmp_lt_u32_e64 s[40:41], v241, v65                       // 000000017368: D0C90028 000283F1
	v_add_u32_e32 v241, 64, v241                               // 000000017370: 69E3E2C0
	s_nop 0                                                    // 000000017374: BF800000
	v_cndmask_b32_e64 v133, v64, v133, s[40:41]                // 000000017378: D1000085 00A30B40
	v_cmp_lt_u32_e64 s[40:41], v242, v65                       // 000000017380: D0C90028 000283F2
	v_add_u32_e32 v242, 64, v242                               // 000000017388: 69E5E4C0
	s_nop 0                                                    // 00000001738C: BF800000
	v_cndmask_b32_e64 v134, v64, v134, s[40:41]                // 000000017390: D1000086 00A30D40
	v_cmp_lt_u32_e64 s[40:41], v243, v65                       // 000000017398: D0C90028 000283F3
	v_add_u32_e32 v243, 64, v243                               // 0000000173A0: 69E7E6C0
	s_nop 0                                                    // 0000000173A4: BF800000
	v_cndmask_b32_e64 v135, v64, v135, s[40:41]                // 0000000173A8: D1000087 00A30F40
	v_cmp_lt_u32_e64 s[40:41], v240, v65                       // 0000000173B0: D0C90028 000283F0
	v_add_u32_e32 v240, 64, v240                               // 0000000173B8: 69E1E0C0
	s_nop 0                                                    // 0000000173BC: BF800000
	v_cndmask_b32_e64 v136, v64, v136, s[40:41]                // 0000000173C0: D1000088 00A31140
	v_cmp_lt_u32_e64 s[40:41], v241, v65                       // 0000000173C8: D0C90028 000283F1
	v_add_u32_e32 v241, 64, v241                               // 0000000173D0: 69E3E2C0
	s_nop 0                                                    // 0000000173D4: BF800000
	v_cndmask_b32_e64 v137, v64, v137, s[40:41]                // 0000000173D8: D1000089 00A31340
	v_cmp_lt_u32_e64 s[40:41], v242, v65                       // 0000000173E0: D0C90028 000283F2
	v_add_u32_e32 v242, 64, v242                               // 0000000173E8: 69E5E4C0
	s_nop 0                                                    // 0000000173EC: BF800000
	v_cndmask_b32_e64 v138, v64, v138, s[40:41]                // 0000000173F0: D100008A 00A31540
	v_cmp_lt_u32_e64 s[40:41], v243, v65                       // 0000000173F8: D0C90028 000283F3
	v_add_u32_e32 v243, 64, v243                               // 000000017400: 69E7E6C0
	s_nop 0                                                    // 000000017404: BF800000
	v_cndmask_b32_e64 v139, v64, v139, s[40:41]                // 000000017408: D100008B 00A31740
	v_cmp_lt_u32_e64 s[40:41], v240, v65                       // 000000017410: D0C90028 000283F0
	v_add_u32_e32 v240, 64, v240                               // 000000017418: 69E1E0C0
	s_nop 0                                                    // 00000001741C: BF800000
	v_cndmask_b32_e64 v140, v64, v140, s[40:41]                // 000000017420: D100008C 00A31940
	v_cmp_lt_u32_e64 s[40:41], v241, v65                       // 000000017428: D0C90028 000283F1
	v_add_u32_e32 v241, 64, v241                               // 000000017430: 69E3E2C0
	s_nop 0                                                    // 000000017434: BF800000
	v_cndmask_b32_e64 v141, v64, v141, s[40:41]                // 000000017438: D100008D 00A31B40
	v_cmp_lt_u32_e64 s[40:41], v242, v65                       // 000000017440: D0C90028 000283F2
	v_add_u32_e32 v242, 64, v242                               // 000000017448: 69E5E4C0
	s_nop 0                                                    // 00000001744C: BF800000
	v_cndmask_b32_e64 v142, v64, v142, s[40:41]                // 000000017450: D100008E 00A31D40
	v_cmp_lt_u32_e64 s[40:41], v243, v65                       // 000000017458: D0C90028 000283F3
	v_add_u32_e32 v243, 64, v243                               // 000000017460: 69E7E6C0
	s_nop 0                                                    // 000000017464: BF800000
	v_cndmask_b32_e64 v143, v64, v143, s[40:41]                // 000000017468: D100008F 00A31F40
	v_mov_b32_e32 v48, v128                                    // 000000017470: 7E600380
	v_max3_f32 v48, v128, v129, v48                            // 000000017474: D1D30030 04C30380
	v_max3_f32 v48, v130, v131, v48                            // 00000001747C: D1D30030 04C30782
	v_max3_f32 v48, v132, v133, v48                            // 000000017484: D1D30030 04C30B84
	v_max3_f32 v48, v134, v135, v48                            // 00000001748C: D1D30030 04C30F86
	v_max3_f32 v48, v136, v137, v48                            // 000000017494: D1D30030 04C31388
	v_max3_f32 v48, v138, v139, v48                            // 00000001749C: D1D30030 04C3178A
	v_max3_f32 v48, v140, v141, v48                            // 0000000174A4: D1D30030 04C31B8C
	v_max3_f32 v48, v142, v143, v48                            // 0000000174AC: D1D30030 04C31F8E
	ds_write_b32 v8, v48 offset:16896                          // 0000000174B4: D81A4200 00003008
	v_mul_f32_e32 v216, v50, v216                              // 0000000174BC: 0BB1B132
	v_mul_f32_e32 v217, v50, v217                              // 0000000174C0: 0BB3B332
	v_mul_f32_e32 v218, v50, v218                              // 0000000174C4: 0BB5B532
	v_mul_f32_e32 v219, v50, v219                              // 0000000174C8: 0BB7B732
	v_mul_f32_e32 v220, v50, v220                              // 0000000174CC: 0BB9B932
	v_mul_f32_e32 v221, v50, v221                              // 0000000174D0: 0BBBBB32
	v_mul_f32_e32 v222, v50, v222                              // 0000000174D4: 0BBDBD32
	v_mul_f32_e32 v223, v50, v223                              // 0000000174D8: 0BBFBF32
	s_waitcnt lgkmcnt(0)                                       // 0000000174DC: BF8CC07F
	s_barrier                                                  // 0000000174E0: BF8A0000
	ds_read_b32 v64, v7 offset:16896                           // 0000000174E4: D86C4200 40000007
	ds_read_b32 v65, v7 offset:16960                           // 0000000174EC: D86C4240 41000007
	ds_read_b32 v66, v7 offset:17024                           // 0000000174F4: D86C4280 42000007
	ds_read_b32 v67, v7 offset:17088                           // 0000000174FC: D86C42C0 43000007
	ds_read_b32 v68, v7 offset:17152                           // 000000017504: D86C4300 44000007
	ds_read_b32 v69, v7 offset:17216                           // 00000001750C: D86C4340 45000007
	ds_read_b32 v70, v7 offset:17280                           // 000000017514: D86C4380 46000007
	ds_read_b32 v71, v7 offset:17344                           // 00000001751C: D86C43C0 47000007
	ds_read_b32 v72, v7 offset:17408                           // 000000017524: D86C4400 48000007
	ds_read_b32 v73, v7 offset:17472                           // 00000001752C: D86C4440 49000007
	ds_read_b32 v74, v7 offset:17536                           // 000000017534: D86C4480 4A000007
	ds_read_b32 v75, v7 offset:17600                           // 00000001753C: D86C44C0 4B000007
	ds_read_b32 v76, v7 offset:17664                           // 000000017544: D86C4500 4C000007
	ds_read_b32 v77, v7 offset:17728                           // 00000001754C: D86C4540 4D000007
	ds_read_b32 v78, v7 offset:17792                           // 000000017554: D86C4580 4E000007
	ds_read_b32 v79, v7 offset:17856                           // 00000001755C: D86C45C0 4F000007
	v_cvt_f32_i32_e32 v184, v184                               // 000000017564: 7F700BB8
	v_cvt_f32_i32_e32 v185, v185                               // 000000017568: 7F720BB9
	v_cvt_f32_i32_e32 v186, v186                               // 00000001756C: 7F740BBA
	v_cvt_f32_i32_e32 v187, v187                               // 000000017570: 7F760BBB
	v_cvt_f32_i32_e32 v188, v188                               // 000000017574: 7F780BBC
	v_cvt_f32_i32_e32 v189, v189                               // 000000017578: 7F7A0BBD
	v_cvt_f32_i32_e32 v190, v190                               // 00000001757C: 7F7C0BBE
	v_cvt_f32_i32_e32 v191, v191                               // 000000017580: 7F7E0BBF
	v_mul_f32_e32 v184, v45, v184                              // 000000017584: 0B71712D
	v_mul_f32_e32 v185, v45, v185                              // 000000017588: 0B73732D
	v_mul_f32_e32 v186, v45, v186                              // 00000001758C: 0B75752D
	v_mul_f32_e32 v187, v45, v187                              // 000000017590: 0B77772D
	v_mul_f32_e32 v188, v45, v188                              // 000000017594: 0B79792D
	v_mul_f32_e32 v189, v45, v189                              // 000000017598: 0B7B7B2D
	v_mul_f32_e32 v190, v45, v190                              // 00000001759C: 0B7D7D2D
	v_mul_f32_e32 v191, v45, v191                              // 0000000175A0: 0B7F7F2D
	s_waitcnt lgkmcnt(0)                                       // 0000000175A4: BF8CC07F
	v_max3_f32 v48, v64, v65, v48                              // 0000000175A8: D1D30030 04C28340
	v_max3_f32 v48, v66, v67, v48                              // 0000000175B0: D1D30030 04C28742
	v_max3_f32 v48, v68, v69, v48                              // 0000000175B8: D1D30030 04C28B44
	v_max3_f32 v48, v70, v71, v48                              // 0000000175C0: D1D30030 04C28F46
	v_max3_f32 v48, v72, v73, v48                              // 0000000175C8: D1D30030 04C29348
	v_max3_f32 v48, v74, v75, v48                              // 0000000175D0: D1D30030 04C2974A
	v_max3_f32 v48, v76, v77, v48                              // 0000000175D8: D1D30030 04C29B4C
	v_max3_f32 v48, v78, v79, v48                              // 0000000175E0: D1D30030 04C29F4E
	v_mov_b32_e32 v64, 0xff800000                              // 0000000175E8: 7E8002FF FF800000
	v_cmp_eq_u32_e64 s[40:41], v64, v12                        // 0000000175F0: D0CA0028 00021940
	s_nop 1                                                    // 0000000175F8: BF800001
	v_max_f32_e32 v15, v48, v12                                // 0000000175FC: 161E1930
	v_mul_f32_e32 v53, s64, v15                                // 000000017600: 0A6A1E40
	v_fma_f32 v128, v128, s64, -v53                            // 000000017604: D1CB0080 84D48180
	v_fma_f32 v129, v129, s64, -v53                            // 00000001760C: D1CB0081 84D48181
	v_fma_f32 v130, v130, s64, -v53                            // 000000017614: D1CB0082 84D48182
	v_fma_f32 v131, v131, s64, -v53                            // 00000001761C: D1CB0083 84D48183
	v_fma_f32 v132, v132, s64, -v53                            // 000000017624: D1CB0084 84D48184
	v_fma_f32 v133, v133, s64, -v53                            // 00000001762C: D1CB0085 84D48185
	v_fma_f32 v134, v134, s64, -v53                            // 000000017634: D1CB0086 84D48186
	v_fma_f32 v135, v135, s64, -v53                            // 00000001763C: D1CB0087 84D48187
	v_fma_f32 v136, v136, s64, -v53                            // 000000017644: D1CB0088 84D48188
	v_fma_f32 v137, v137, s64, -v53                            // 00000001764C: D1CB0089 84D48189
	v_fma_f32 v138, v138, s64, -v53                            // 000000017654: D1CB008A 84D4818A
	v_fma_f32 v139, v139, s64, -v53                            // 00000001765C: D1CB008B 84D4818B
	v_fma_f32 v140, v140, s64, -v53                            // 000000017664: D1CB008C 84D4818C
	v_fma_f32 v141, v141, s64, -v53                            // 00000001766C: D1CB008D 84D4818D
	v_fma_f32 v142, v142, s64, -v53                            // 000000017674: D1CB008E 84D4818E
	v_fma_f32 v143, v143, s64, -v53                            // 00000001767C: D1CB008F 84D4818F
	v_exp_f32_e32 v128, v128                                   // 000000017684: 7F004180
	v_exp_f32_e32 v129, v129                                   // 000000017688: 7F024181
	v_exp_f32_e32 v130, v130                                   // 00000001768C: 7F044182
	v_exp_f32_e32 v131, v131                                   // 000000017690: 7F064183
	v_exp_f32_e32 v132, v132                                   // 000000017694: 7F084184
	v_exp_f32_e32 v133, v133                                   // 000000017698: 7F0A4185
	v_exp_f32_e32 v134, v134                                   // 00000001769C: 7F0C4186
	v_exp_f32_e32 v135, v135                                   // 0000000176A0: 7F0E4187
	v_exp_f32_e32 v136, v136                                   // 0000000176A4: 7F104188
	v_exp_f32_e32 v137, v137                                   // 0000000176A8: 7F124189
	v_exp_f32_e32 v138, v138                                   // 0000000176AC: 7F14418A
	v_exp_f32_e32 v139, v139                                   // 0000000176B0: 7F16418B
	v_exp_f32_e32 v140, v140                                   // 0000000176B4: 7F18418C
	v_exp_f32_e32 v141, v141                                   // 0000000176B8: 7F1A418D
	v_exp_f32_e32 v142, v142                                   // 0000000176BC: 7F1C418E
	v_exp_f32_e32 v143, v143                                   // 0000000176C0: 7F1E418F
	v_mul_f32_dpp v240, v252, v128 quad_perm:[0,0,0,0] row_mask:0xf bank_mask:0xf// 0000000176C4: 0BE100FA FF0000FC
	v_mul_f32_dpp v241, v252, v129 quad_perm:[1,1,1,1] row_mask:0xf bank_mask:0xf// 0000000176CC: 0BE302FA FF0055FC
	v_mul_f32_dpp v242, v252, v130 quad_perm:[2,2,2,2] row_mask:0xf bank_mask:0xf// 0000000176D4: 0BE504FA FF00AAFC
	v_mul_f32_dpp v243, v252, v131 quad_perm:[3,3,3,3] row_mask:0xf bank_mask:0xf// 0000000176DC: 0BE706FA FF00FFFC
	v_mul_f32_dpp v244, v253, v132 quad_perm:[0,0,0,0] row_mask:0xf bank_mask:0xf// 0000000176E4: 0BE908FA FF0000FD
	v_mul_f32_dpp v245, v253, v133 quad_perm:[1,1,1,1] row_mask:0xf bank_mask:0xf// 0000000176EC: 0BEB0AFA FF0055FD
	v_mul_f32_dpp v246, v253, v134 quad_perm:[2,2,2,2] row_mask:0xf bank_mask:0xf// 0000000176F4: 0BED0CFA FF00AAFD
	v_mul_f32_dpp v247, v253, v135 quad_perm:[3,3,3,3] row_mask:0xf bank_mask:0xf// 0000000176FC: 0BEF0EFA FF00FFFD
	v_mul_f32_dpp v248, v254, v136 quad_perm:[0,0,0,0] row_mask:0xf bank_mask:0xf// 000000017704: 0BF110FA FF0000FE
	v_mul_f32_dpp v249, v254, v137 quad_perm:[1,1,1,1] row_mask:0xf bank_mask:0xf// 00000001770C: 0BF312FA FF0055FE
	v_mul_f32_dpp v250, v254, v138 quad_perm:[2,2,2,2] row_mask:0xf bank_mask:0xf// 000000017714: 0BF514FA FF00AAFE
	v_mul_f32_dpp v251, v254, v139 quad_perm:[3,3,3,3] row_mask:0xf bank_mask:0xf// 00000001771C: 0BF716FA FF00FFFE
	v_mul_f32_dpp v252, v255, v140 quad_perm:[0,0,0,0] row_mask:0xf bank_mask:0xf// 000000017724: 0BF918FA FF0000FF
	v_mul_f32_dpp v253, v255, v141 quad_perm:[1,1,1,1] row_mask:0xf bank_mask:0xf// 00000001772C: 0BFB1AFA FF0055FF
	v_mul_f32_dpp v254, v255, v142 quad_perm:[2,2,2,2] row_mask:0xf bank_mask:0xf// 000000017734: 0BFD1CFA FF00AAFF
	v_mul_f32_dpp v255, v255, v143 quad_perm:[3,3,3,3] row_mask:0xf bank_mask:0xf// 00000001773C: 0BFF1EFA FF00FFFF
	v_mov_b32_e32 v48, 0x358637bd                              // 000000017744: 7E6002FF 358637BD
	v_max3_f32 v48, |v240|, |v241|, v48                        // 00000001774C: D1D30330 04C3E3F0
	v_max3_f32 v48, |v242|, |v243|, v48                        // 000000017754: D1D30330 04C3E7F2
	v_max3_f32 v48, |v244|, |v245|, v48                        // 00000001775C: D1D30330 04C3EBF4
	v_max3_f32 v48, |v246|, |v247|, v48                        // 000000017764: D1D30330 04C3EFF6
	v_max3_f32 v48, |v248|, |v249|, v48                        // 00000001776C: D1D30330 04C3F3F8
	v_max3_f32 v48, |v250|, |v251|, v48                        // 000000017774: D1D30330 04C3F7FA
	v_max3_f32 v48, |v252|, |v253|, v48                        // 00000001777C: D1D30330 04C3FBFC
	v_max3_f32 v48, |v254|, |v255|, v48                        // 000000017784: D1D30330 04C3FFFE
	ds_write_b32 v8, v48 offset:20992                          // 00000001778C: D81A5200 00003008
	v_sub_f32_e32 v50, v12, v15                                // 000000017794: 04641F0C
	v_cndmask_b32_e64 v50, v50, 0, s[40:41]                    // 000000017798: D1000032 00A10132
	v_mov_b32_e32 v12, v15                                     // 0000000177A0: 7E18030F
	v_mul_f32_e32 v50, s64, v50                                // 0000000177A4: 0A646440
	v_exp_f32_e32 v50, v50                                     // 0000000177A8: 7E644132
	s_waitcnt lgkmcnt(0)                                       // 0000000177AC: BF8CC07F
	s_barrier                                                  // 0000000177B0: BF8A0000
	ds_read_b32 v64, v7 offset:20992                           // 0000000177B4: D86C5200 40000007
	ds_read_b32 v65, v7 offset:21056                           // 0000000177BC: D86C5240 41000007
	ds_read_b32 v66, v7 offset:21120                           // 0000000177C4: D86C5280 42000007
	ds_read_b32 v67, v7 offset:21184                           // 0000000177CC: D86C52C0 43000007
	ds_read_b32 v68, v7 offset:21248                           // 0000000177D4: D86C5300 44000007
	ds_read_b32 v69, v7 offset:21312                           // 0000000177DC: D86C5340 45000007
	ds_read_b32 v70, v7 offset:21376                           // 0000000177E4: D86C5380 46000007
	ds_read_b32 v71, v7 offset:21440                           // 0000000177EC: D86C53C0 47000007
	ds_read_b32 v72, v7 offset:21504                           // 0000000177F4: D86C5400 48000007
	ds_read_b32 v73, v7 offset:21568                           // 0000000177FC: D86C5440 49000007
	ds_read_b32 v74, v7 offset:21632                           // 000000017804: D86C5480 4A000007
	ds_read_b32 v75, v7 offset:21696                           // 00000001780C: D86C54C0 4B000007
	ds_read_b32 v76, v7 offset:21760                           // 000000017814: D86C5500 4C000007
	ds_read_b32 v77, v7 offset:21824                           // 00000001781C: D86C5540 4D000007
	ds_read_b32 v78, v7 offset:21888                           // 000000017824: D86C5580 4E000007
	ds_read_b32 v79, v7 offset:21952                           // 00000001782C: D86C55C0 4F000007
	v_mul_f32_e32 v39, v50, v39                                // 000000017834: 0A4E4F32
	v_mov_b32_e32 v15, v128                                    // 000000017838: 7E1E0380
	v_add_f32_e32 v15, v129, v15                               // 00000001783C: 021E1F81
	v_add_f32_e32 v15, v130, v15                               // 000000017840: 021E1F82
	v_add_f32_e32 v15, v131, v15                               // 000000017844: 021E1F83
	v_add_f32_e32 v15, v132, v15                               // 000000017848: 021E1F84
	v_add_f32_e32 v15, v133, v15                               // 00000001784C: 021E1F85
	v_add_f32_e32 v15, v134, v15                               // 000000017850: 021E1F86
	v_add_f32_e32 v15, v135, v15                               // 000000017854: 021E1F87
	v_add_f32_e32 v15, v136, v15                               // 000000017858: 021E1F88
	v_add_f32_e32 v15, v137, v15                               // 00000001785C: 021E1F89
	v_add_f32_e32 v15, v138, v15                               // 000000017860: 021E1F8A
	v_add_f32_e32 v15, v139, v15                               // 000000017864: 021E1F8B
	v_add_f32_e32 v15, v140, v15                               // 000000017868: 021E1F8C
	v_add_f32_e32 v15, v141, v15                               // 00000001786C: 021E1F8D
	v_add_f32_e32 v15, v142, v15                               // 000000017870: 021E1F8E
	v_add_f32_e32 v15, v143, v15                               // 000000017874: 021E1F8F
	v_add_f32_e32 v39, v15, v39                                // 000000017878: 024E4F0F
	s_waitcnt lgkmcnt(0)                                       // 00000001787C: BF8CC07F
	v_max3_f32 v48, |v64|, |v65|, v48                          // 000000017880: D1D30330 04C28340
	v_max3_f32 v48, |v66|, |v67|, v48                          // 000000017888: D1D30330 04C28742
	v_max3_f32 v48, |v68|, |v69|, v48                          // 000000017890: D1D30330 04C28B44
	v_max3_f32 v48, |v70|, |v71|, v48                          // 000000017898: D1D30330 04C28F46
	v_max3_f32 v48, |v72|, |v73|, v48                          // 0000000178A0: D1D30330 04C29348
	v_max3_f32 v48, |v74|, |v75|, v48                          // 0000000178A8: D1D30330 04C2974A
	v_max3_f32 v48, |v76|, |v77|, v48                          // 0000000178B0: D1D30330 04C29B4C
	v_max3_f32 v48, |v78|, |v79|, v48                          // 0000000178B8: D1D30330 04C29F4E
	s_nop 2                                                    // 0000000178C0: BF800002
	v_rcp_f32_e32 v48, v48                                     // 0000000178C4: 7E604530
	s_nop 1                                                    // 0000000178C8: BF800001
	v_mul_f32_e32 v48, 0x42fe0000, v48                         // 0000000178CC: 0A6060FF 42FE0000
	v_mul_f32_e32 v128, v48, v240                              // 0000000178D4: 0B01E130
	v_mul_f32_e32 v129, v48, v241                              // 0000000178D8: 0B03E330
	v_mul_f32_e32 v130, v48, v242                              // 0000000178DC: 0B05E530
	v_mul_f32_e32 v131, v48, v243                              // 0000000178E0: 0B07E730
	v_mul_f32_e32 v132, v48, v244                              // 0000000178E4: 0B09E930
	v_mul_f32_e32 v133, v48, v245                              // 0000000178E8: 0B0BEB30
	v_mul_f32_e32 v134, v48, v246                              // 0000000178EC: 0B0DED30
	v_mul_f32_e32 v135, v48, v247                              // 0000000178F0: 0B0FEF30
	v_mul_f32_e32 v136, v48, v248                              // 0000000178F4: 0B11F130
	v_mul_f32_e32 v137, v48, v249                              // 0000000178F8: 0B13F330
	v_mul_f32_e32 v138, v48, v250                              // 0000000178FC: 0B15F530
	v_mul_f32_e32 v139, v48, v251                              // 000000017900: 0B17F730
	v_mul_f32_e32 v140, v48, v252                              // 000000017904: 0B19F930
	v_mul_f32_e32 v141, v48, v253                              // 000000017908: 0B1BFB30
	v_mul_f32_e32 v142, v48, v254                              // 00000001790C: 0B1DFD30
	v_mul_f32_e32 v143, v48, v255                              // 000000017910: 0B1FFF30
	v_cvt_i32_f32_e32 v128, v128                               // 000000017914: 7F001180
	v_cvt_i32_f32_e32 v129, v129                               // 000000017918: 7F021181
	v_cvt_i32_f32_e32 v130, v130                               // 00000001791C: 7F041182
	v_cvt_i32_f32_e32 v131, v131                               // 000000017920: 7F061183
	v_cvt_i32_f32_e32 v132, v132                               // 000000017924: 7F081184
	v_cvt_i32_f32_e32 v133, v133                               // 000000017928: 7F0A1185
	v_cvt_i32_f32_e32 v134, v134                               // 00000001792C: 7F0C1186
	v_cvt_i32_f32_e32 v135, v135                               // 000000017930: 7F0E1187
	v_cvt_i32_f32_e32 v136, v136                               // 000000017934: 7F101188
	v_cvt_i32_f32_e32 v137, v137                               // 000000017938: 7F121189
	v_cvt_i32_f32_e32 v138, v138                               // 00000001793C: 7F14118A
	v_cvt_i32_f32_e32 v139, v139                               // 000000017940: 7F16118B
	v_cvt_i32_f32_e32 v140, v140                               // 000000017944: 7F18118C
	v_cvt_i32_f32_e32 v141, v141                               // 000000017948: 7F1A118D
	v_cvt_i32_f32_e32 v142, v142                               // 00000001794C: 7F1C118E
	v_cvt_i32_f32_e32 v143, v143                               // 000000017950: 7F1E118F
	v_perm_b32 v128, v129, v128, s53                           // 000000017954: D1ED0080 00D70181
	v_perm_b32 v128, v130, v128, s54                           // 00000001795C: D1ED0080 00DB0182
	v_perm_b32 v128, v131, v128, s55                           // 000000017964: D1ED0080 00DF0183
	v_perm_b32 v129, v133, v132, s53                           // 00000001796C: D1ED0081 00D70985
	v_perm_b32 v129, v134, v129, s54                           // 000000017974: D1ED0081 00DB0386
	v_perm_b32 v129, v135, v129, s55                           // 00000001797C: D1ED0081 00DF0387
	v_perm_b32 v130, v137, v136, s53                           // 000000017984: D1ED0082 00D71189
	v_perm_b32 v130, v138, v130, s54                           // 00000001798C: D1ED0082 00DB058A
	v_perm_b32 v130, v139, v130, s55                           // 000000017994: D1ED0082 00DF058B
	v_perm_b32 v131, v141, v140, s53                           // 00000001799C: D1ED0083 00D7198D
	v_perm_b32 v131, v142, v131, s54                           // 0000000179A4: D1ED0083 00DB078E
	v_perm_b32 v131, v143, v131, s55                           // 0000000179AC: D1ED0083 00DF078F
	ds_write_b32 v10, v128 offset:29184                        // 0000000179B4: D81A7200 0000800A
	ds_write_b32 v10, v129 offset:30208                        // 0000000179BC: D81A7600 0000810A
	ds_write_b32 v10, v130 offset:31232                        // 0000000179C4: D81A7A00 0000820A
	ds_write_b32 v10, v131 offset:32256                        // 0000000179CC: D81A7E00 0000830A
	v_add_f32_e32 v216, v216, v184                             // 0000000179D4: 03B171D8
	v_add_f32_e32 v217, v217, v185                             // 0000000179D8: 03B373D9
	v_add_f32_e32 v218, v218, v186                             // 0000000179DC: 03B575DA
	v_add_f32_e32 v219, v219, v187                             // 0000000179E0: 03B777DB
	v_add_f32_e32 v220, v220, v188                             // 0000000179E4: 03B979DC
	v_add_f32_e32 v221, v221, v189                             // 0000000179E8: 03BB7BDD
	v_add_f32_e32 v222, v222, v190                             // 0000000179EC: 03BD7DDE
	v_add_f32_e32 v223, v223, v191                             // 0000000179F0: 03BF7FDF
	v_rcp_f32_e32 v45, v48                                     // 0000000179F4: 7E5A4530
	s_waitcnt lgkmcnt(0)                                       // 0000000179F8: BF8CC07F
	s_barrier                                                  // 0000000179FC: BF8A0000
	ds_read_b64 v[128:129], v9 offset:29184                    // 000000017A00: D8EC7200 80000009
	ds_read_b64 v[130:131], v9 offset:29312                    // 000000017A08: D8EC7280 82000009
	ds_read_b64 v[132:133], v9 offset:30208                    // 000000017A10: D8EC7600 84000009
	ds_read_b64 v[134:135], v9 offset:30336                    // 000000017A18: D8EC7680 86000009
	ds_read_b64 v[136:137], v9 offset:31232                    // 000000017A20: D8EC7A00 88000009
	ds_read_b64 v[138:139], v9 offset:31360                    // 000000017A28: D8EC7A80 8A000009
	ds_read_b64 v[140:141], v9 offset:32256                    // 000000017A30: D8EC7E00 8C000009
	ds_read_b64 v[142:143], v9 offset:32384                    // 000000017A38: D8EC7E80 8E000009
	v_mov_b32_dpp v64, v42 row_shr:4 row_mask:0xf bank_mask:0xf// 000000017A40: 7E8002FA FF01142A
	v_mov_b32_dpp v65, v42 row_shl:4 row_mask:0xf bank_mask:0xf// 000000017A48: 7E8202FA FF01042A
	v_cndmask_b32_e64 v248, v42, v64, s[44:45]                 // 000000017A50: D10000F8 00B2812A
	v_cndmask_b32_e64 v249, v65, v42, s[44:45]                 // 000000017A58: D10000F9 00B25541
	v_mov_b32_dpp v64, v248 row_shr:8 row_mask:0xf bank_mask:0xf// 000000017A60: 7E8002FA FF0118F8
	v_mov_b32_dpp v65, v248 row_shl:8 row_mask:0xf bank_mask:0xf// 000000017A68: 7E8202FA FF0108F8
	v_mov_b32_dpp v66, v249 row_shr:8 row_mask:0xf bank_mask:0xf// 000000017A70: 7E8402FA FF0118F9
	v_mov_b32_dpp v67, v249 row_shl:8 row_mask:0xf bank_mask:0xf// 000000017A78: 7E8602FA FF0108F9
	v_mov_b32_e32 v68, v248                                    // 000000017A80: 7E8803F8
	v_mov_b32_e32 v69, v249                                    // 000000017A84: 7E8A03F9
	v_cndmask_b32_e64 v248, v68, v64, s[42:43]                 // 000000017A88: D10000F8 00AA8144
	v_cndmask_b32_e64 v250, v68, v65, s[78:79]                 // 000000017A90: D10000FA 013A8344
	v_cndmask_b32_e64 v249, v69, v66, s[42:43]                 // 000000017A98: D10000F9 00AA8545
	v_cndmask_b32_e64 v251, v69, v67, s[78:79]                 // 000000017AA0: D10000FB 013A8745
	v_mov_b32_dpp v64, v57 row_shr:4 row_mask:0xf bank_mask:0xf// 000000017AA8: 7E8002FA FF011439
	v_mov_b32_dpp v65, v57 row_shl:4 row_mask:0xf bank_mask:0xf// 000000017AB0: 7E8202FA FF010439
	v_cndmask_b32_e64 v252, v57, v64, s[44:45]                 // 000000017AB8: D10000FC 00B28139
	v_cndmask_b32_e64 v253, v65, v57, s[44:45]                 // 000000017AC0: D10000FD 00B27341
	v_mov_b32_dpp v64, v252 row_shr:8 row_mask:0xf bank_mask:0xf// 000000017AC8: 7E8002FA FF0118FC
	v_mov_b32_dpp v65, v252 row_shl:8 row_mask:0xf bank_mask:0xf// 000000017AD0: 7E8202FA FF0108FC
	v_mov_b32_dpp v66, v253 row_shr:8 row_mask:0xf bank_mask:0xf// 000000017AD8: 7E8402FA FF0118FD
	v_mov_b32_dpp v67, v253 row_shl:8 row_mask:0xf bank_mask:0xf// 000000017AE0: 7E8602FA FF0108FD
	v_mov_b32_e32 v68, v252                                    // 000000017AE8: 7E8803FC
	v_mov_b32_e32 v69, v253                                    // 000000017AEC: 7E8A03FD
	v_cndmask_b32_e64 v252, v68, v64, s[42:43]                 // 000000017AF0: D10000FC 00AA8144
	v_cndmask_b32_e64 v254, v68, v65, s[78:79]                 // 000000017AF8: D10000FE 013A8344
	v_cndmask_b32_e64 v253, v69, v66, s[42:43]                 // 000000017B00: D10000FD 00AA8545
	v_cndmask_b32_e64 v255, v69, v67, s[78:79]                 // 000000017B08: D10000FF 013A8745
	v_cvt_f32_i32_e32 v144, v144                               // 000000017B10: 7F200B90
	v_cvt_f32_i32_e32 v145, v145                               // 000000017B14: 7F220B91
	v_cvt_f32_i32_e32 v146, v146                               // 000000017B18: 7F240B92
	v_cvt_f32_i32_e32 v147, v147                               // 000000017B1C: 7F260B93
	v_cvt_f32_i32_e32 v148, v148                               // 000000017B20: 7F280B94
	v_cvt_f32_i32_e32 v149, v149                               // 000000017B24: 7F2A0B95
	v_cvt_f32_i32_e32 v150, v150                               // 000000017B28: 7F2C0B96
	v_cvt_f32_i32_e32 v151, v151                               // 000000017B2C: 7F2E0B97
	v_cvt_f32_i32_e32 v152, v152                               // 000000017B30: 7F300B98
	v_cvt_f32_i32_e32 v153, v153                               // 000000017B34: 7F320B99
	v_cvt_f32_i32_e32 v154, v154                               // 000000017B38: 7F340B9A
	v_cvt_f32_i32_e32 v155, v155                               // 000000017B3C: 7F360B9B
	v_cvt_f32_i32_e32 v156, v156                               // 000000017B40: 7F380B9C
	v_cvt_f32_i32_e32 v157, v157                               // 000000017B44: 7F3A0B9D
	v_cvt_f32_i32_e32 v158, v158                               // 000000017B48: 7F3C0B9E
	v_cvt_f32_i32_e32 v159, v159                               // 000000017B4C: 7F3E0B9F
	v_mul_f32_e32 v144, v20, v144                              // 000000017B50: 0B212114
	v_mul_f32_e32 v145, v20, v145                              // 000000017B54: 0B232314
	v_mul_f32_e32 v146, v20, v146                              // 000000017B58: 0B252514
	v_mul_f32_e32 v147, v20, v147                              // 000000017B5C: 0B272714
	v_mul_f32_e32 v148, v20, v148                              // 000000017B60: 0B292914
	v_mul_f32_e32 v149, v20, v149                              // 000000017B64: 0B2B2B14
	v_mul_f32_e32 v150, v20, v150                              // 000000017B68: 0B2D2D14
	v_mul_f32_e32 v151, v20, v151                              // 000000017B6C: 0B2F2F14
	v_mul_f32_e32 v152, v20, v152                              // 000000017B70: 0B313114
	v_mul_f32_e32 v153, v20, v153                              // 000000017B74: 0B333314
	v_mul_f32_e32 v154, v20, v154                              // 000000017B78: 0B353514
	v_mul_f32_e32 v155, v20, v155                              // 000000017B7C: 0B373714
	v_mul_f32_e32 v156, v20, v156                              // 000000017B80: 0B393914
	v_mul_f32_e32 v157, v20, v157                              // 000000017B84: 0B3B3B14
	v_mul_f32_e32 v158, v20, v158                              // 000000017B88: 0B3D3D14
	v_mul_f32_e32 v159, v20, v159                              // 000000017B8C: 0B3F3F14
	v_mul_f32_dpp v144, v248, v144 quad_perm:[0,0,0,0] row_mask:0xf bank_mask:0xf// 000000017B90: 0B2120FA FF0000F8
	v_mul_f32_dpp v145, v248, v145 quad_perm:[1,1,1,1] row_mask:0xf bank_mask:0xf// 000000017B98: 0B2322FA FF0055F8
	v_mul_f32_dpp v146, v248, v146 quad_perm:[2,2,2,2] row_mask:0xf bank_mask:0xf// 000000017BA0: 0B2524FA FF00AAF8
	v_mul_f32_dpp v147, v248, v147 quad_perm:[3,3,3,3] row_mask:0xf bank_mask:0xf// 000000017BA8: 0B2726FA FF00FFF8
	v_mul_f32_dpp v148, v249, v148 quad_perm:[0,0,0,0] row_mask:0xf bank_mask:0xf// 000000017BB0: 0B2928FA FF0000F9
	v_mul_f32_dpp v149, v249, v149 quad_perm:[1,1,1,1] row_mask:0xf bank_mask:0xf// 000000017BB8: 0B2B2AFA FF0055F9
	v_mul_f32_dpp v150, v249, v150 quad_perm:[2,2,2,2] row_mask:0xf bank_mask:0xf// 000000017BC0: 0B2D2CFA FF00AAF9
	v_mul_f32_dpp v151, v249, v151 quad_perm:[3,3,3,3] row_mask:0xf bank_mask:0xf// 000000017BC8: 0B2F2EFA FF00FFF9
	v_mul_f32_dpp v152, v250, v152 quad_perm:[0,0,0,0] row_mask:0xf bank_mask:0xf// 000000017BD0: 0B3130FA FF0000FA
	v_mul_f32_dpp v153, v250, v153 quad_perm:[1,1,1,1] row_mask:0xf bank_mask:0xf// 000000017BD8: 0B3332FA FF0055FA
	v_mul_f32_dpp v154, v250, v154 quad_perm:[2,2,2,2] row_mask:0xf bank_mask:0xf// 000000017BE0: 0B3534FA FF00AAFA
	v_mul_f32_dpp v155, v250, v155 quad_perm:[3,3,3,3] row_mask:0xf bank_mask:0xf// 000000017BE8: 0B3736FA FF00FFFA
	v_mul_f32_dpp v156, v251, v156 quad_perm:[0,0,0,0] row_mask:0xf bank_mask:0xf// 000000017BF0: 0B3938FA FF0000FB
	v_mul_f32_dpp v157, v251, v157 quad_perm:[1,1,1,1] row_mask:0xf bank_mask:0xf// 000000017BF8: 0B3B3AFA FF0055FB
	v_mul_f32_dpp v158, v251, v158 quad_perm:[2,2,2,2] row_mask:0xf bank_mask:0xf// 000000017C00: 0B3D3CFA FF00AAFB
	v_mul_f32_dpp v159, v251, v159 quad_perm:[3,3,3,3] row_mask:0xf bank_mask:0xf// 000000017C08: 0B3F3EFA FF00FFFB
	s_and_b32 s60, s72, 0xff                                   // 000000017C10: 863CFF48 000000FF
	v_mov_b32_e32 v65, s60                                     // 000000017C18: 7E82023C
	v_lshrrev_b32_e32 v240, 4, v0                              // 000000017C1C: 21E00084
	v_mul_i32_i24_e32 v240, 4, v240                            // 000000017C20: 0DE1E084
	s_mul_i32 s60, s7, 16                                      // 000000017C24: 923C9007
	v_add_u32_e32 v240, s60, v240                              // 000000017C28: 69E1E03C
	v_add_u32_e32 v241, 1, v240                                // 000000017C2C: 69E3E081
	v_add_u32_e32 v242, 2, v240                                // 000000017C30: 69E5E082
	v_add_u32_e32 v243, 3, v240                                // 000000017C34: 69E7E083
	v_mov_b32_e32 v64, 0xff800000                              // 000000017C38: 7E8002FF FF800000
	v_cmp_lt_u32_e64 s[40:41], v240, v65                       // 000000017C40: D0C90028 000283F0
	v_add_u32_e32 v240, 64, v240                               // 000000017C48: 69E1E0C0
	s_nop 0                                                    // 000000017C4C: BF800000
	v_cndmask_b32_e64 v144, v64, v144, s[40:41]                // 000000017C50: D1000090 00A32140
	v_cmp_lt_u32_e64 s[40:41], v241, v65                       // 000000017C58: D0C90028 000283F1
	v_add_u32_e32 v241, 64, v241                               // 000000017C60: 69E3E2C0
	s_nop 0                                                    // 000000017C64: BF800000
	v_cndmask_b32_e64 v145, v64, v145, s[40:41]                // 000000017C68: D1000091 00A32340
	v_cmp_lt_u32_e64 s[40:41], v242, v65                       // 000000017C70: D0C90028 000283F2
	v_add_u32_e32 v242, 64, v242                               // 000000017C78: 69E5E4C0
	s_nop 0                                                    // 000000017C7C: BF800000
	v_cndmask_b32_e64 v146, v64, v146, s[40:41]                // 000000017C80: D1000092 00A32540
	v_cmp_lt_u32_e64 s[40:41], v243, v65                       // 000000017C88: D0C90028 000283F3
	v_add_u32_e32 v243, 64, v243                               // 000000017C90: 69E7E6C0
	s_nop 0                                                    // 000000017C94: BF800000
	v_cndmask_b32_e64 v147, v64, v147, s[40:41]                // 000000017C98: D1000093 00A32740
	v_cmp_lt_u32_e64 s[40:41], v240, v65                       // 000000017CA0: D0C90028 000283F0
	v_add_u32_e32 v240, 64, v240                               // 000000017CA8: 69E1E0C0
	s_nop 0                                                    // 000000017CAC: BF800000
	v_cndmask_b32_e64 v148, v64, v148, s[40:41]                // 000000017CB0: D1000094 00A32940
	v_cmp_lt_u32_e64 s[40:41], v241, v65                       // 000000017CB8: D0C90028 000283F1
	v_add_u32_e32 v241, 64, v241                               // 000000017CC0: 69E3E2C0
	s_nop 0                                                    // 000000017CC4: BF800000
	v_cndmask_b32_e64 v149, v64, v149, s[40:41]                // 000000017CC8: D1000095 00A32B40
	v_cmp_lt_u32_e64 s[40:41], v242, v65                       // 000000017CD0: D0C90028 000283F2
	v_add_u32_e32 v242, 64, v242                               // 000000017CD8: 69E5E4C0
	s_nop 0                                                    // 000000017CDC: BF800000
	v_cndmask_b32_e64 v150, v64, v150, s[40:41]                // 000000017CE0: D1000096 00A32D40
	v_cmp_lt_u32_e64 s[40:41], v243, v65                       // 000000017CE8: D0C90028 000283F3
	v_add_u32_e32 v243, 64, v243                               // 000000017CF0: 69E7E6C0
	s_nop 0                                                    // 000000017CF4: BF800000
	v_cndmask_b32_e64 v151, v64, v151, s[40:41]                // 000000017CF8: D1000097 00A32F40
	v_cmp_lt_u32_e64 s[40:41], v240, v65                       // 000000017D00: D0C90028 000283F0
	v_add_u32_e32 v240, 64, v240                               // 000000017D08: 69E1E0C0
	s_nop 0                                                    // 000000017D0C: BF800000
	v_cndmask_b32_e64 v152, v64, v152, s[40:41]                // 000000017D10: D1000098 00A33140
	v_cmp_lt_u32_e64 s[40:41], v241, v65                       // 000000017D18: D0C90028 000283F1
	v_add_u32_e32 v241, 64, v241                               // 000000017D20: 69E3E2C0
	s_nop 0                                                    // 000000017D24: BF800000
	v_cndmask_b32_e64 v153, v64, v153, s[40:41]                // 000000017D28: D1000099 00A33340
	v_cmp_lt_u32_e64 s[40:41], v242, v65                       // 000000017D30: D0C90028 000283F2
	v_add_u32_e32 v242, 64, v242                               // 000000017D38: 69E5E4C0
	s_nop 0                                                    // 000000017D3C: BF800000
	v_cndmask_b32_e64 v154, v64, v154, s[40:41]                // 000000017D40: D100009A 00A33540
	v_cmp_lt_u32_e64 s[40:41], v243, v65                       // 000000017D48: D0C90028 000283F3
	v_add_u32_e32 v243, 64, v243                               // 000000017D50: 69E7E6C0
	s_nop 0                                                    // 000000017D54: BF800000
	v_cndmask_b32_e64 v155, v64, v155, s[40:41]                // 000000017D58: D100009B 00A33740
	v_cmp_lt_u32_e64 s[40:41], v240, v65                       // 000000017D60: D0C90028 000283F0
	v_add_u32_e32 v240, 64, v240                               // 000000017D68: 69E1E0C0
	s_nop 0                                                    // 000000017D6C: BF800000
	v_cndmask_b32_e64 v156, v64, v156, s[40:41]                // 000000017D70: D100009C 00A33940
	v_cmp_lt_u32_e64 s[40:41], v241, v65                       // 000000017D78: D0C90028 000283F1
	v_add_u32_e32 v241, 64, v241                               // 000000017D80: 69E3E2C0
	s_nop 0                                                    // 000000017D84: BF800000
	v_cndmask_b32_e64 v157, v64, v157, s[40:41]                // 000000017D88: D100009D 00A33B40
	v_cmp_lt_u32_e64 s[40:41], v242, v65                       // 000000017D90: D0C90028 000283F2
	v_add_u32_e32 v242, 64, v242                               // 000000017D98: 69E5E4C0
	s_nop 0                                                    // 000000017D9C: BF800000
	v_cndmask_b32_e64 v158, v64, v158, s[40:41]                // 000000017DA0: D100009E 00A33D40
	v_cmp_lt_u32_e64 s[40:41], v243, v65                       // 000000017DA8: D0C90028 000283F3
	v_add_u32_e32 v243, 64, v243                               // 000000017DB0: 69E7E6C0
	s_nop 0                                                    // 000000017DB4: BF800000
	v_cndmask_b32_e64 v159, v64, v159, s[40:41]                // 000000017DB8: D100009F 00A33F40
	v_mov_b32_e32 v48, v144                                    // 000000017DC0: 7E600390
	v_max3_f32 v48, v144, v145, v48                            // 000000017DC4: D1D30030 04C32390
	v_max3_f32 v48, v146, v147, v48                            // 000000017DCC: D1D30030 04C32792
	v_max3_f32 v48, v148, v149, v48                            // 000000017DD4: D1D30030 04C32B94
	v_max3_f32 v48, v150, v151, v48                            // 000000017DDC: D1D30030 04C32F96
	v_max3_f32 v48, v152, v153, v48                            // 000000017DE4: D1D30030 04C33398
	v_max3_f32 v48, v154, v155, v48                            // 000000017DEC: D1D30030 04C3379A
	v_max3_f32 v48, v156, v157, v48                            // 000000017DF4: D1D30030 04C33B9C
	v_max3_f32 v48, v158, v159, v48                            // 000000017DFC: D1D30030 04C33F9E
	ds_write_b32 v8, v48 offset:16896                          // 000000017E04: D81A4200 00003008
	v_mul_f32_e32 v224, v51, v224                              // 000000017E0C: 0BC1C133
	v_mul_f32_e32 v225, v51, v225                              // 000000017E10: 0BC3C333
	v_mul_f32_e32 v226, v51, v226                              // 000000017E14: 0BC5C533
	v_mul_f32_e32 v227, v51, v227                              // 000000017E18: 0BC7C733
	v_mul_f32_e32 v228, v51, v228                              // 000000017E1C: 0BC9C933
	v_mul_f32_e32 v229, v51, v229                              // 000000017E20: 0BCBCB33
	v_mul_f32_e32 v230, v51, v230                              // 000000017E24: 0BCDCD33
	v_mul_f32_e32 v231, v51, v231                              // 000000017E28: 0BCFCF33
	s_waitcnt lgkmcnt(0)                                       // 000000017E2C: BF8CC07F
	s_barrier                                                  // 000000017E30: BF8A0000
	ds_read_b32 v64, v7 offset:16896                           // 000000017E34: D86C4200 40000007
	ds_read_b32 v65, v7 offset:16960                           // 000000017E3C: D86C4240 41000007
	ds_read_b32 v66, v7 offset:17024                           // 000000017E44: D86C4280 42000007
	ds_read_b32 v67, v7 offset:17088                           // 000000017E4C: D86C42C0 43000007
	ds_read_b32 v68, v7 offset:17152                           // 000000017E54: D86C4300 44000007
	ds_read_b32 v69, v7 offset:17216                           // 000000017E5C: D86C4340 45000007
	ds_read_b32 v70, v7 offset:17280                           // 000000017E64: D86C4380 46000007
	ds_read_b32 v71, v7 offset:17344                           // 000000017E6C: D86C43C0 47000007
	ds_read_b32 v72, v7 offset:17408                           // 000000017E74: D86C4400 48000007
	ds_read_b32 v73, v7 offset:17472                           // 000000017E7C: D86C4440 49000007
	ds_read_b32 v74, v7 offset:17536                           // 000000017E84: D86C4480 4A000007
	ds_read_b32 v75, v7 offset:17600                           // 000000017E8C: D86C44C0 4B000007
	ds_read_b32 v76, v7 offset:17664                           // 000000017E94: D86C4500 4C000007
	ds_read_b32 v77, v7 offset:17728                           // 000000017E9C: D86C4540 4D000007
	ds_read_b32 v78, v7 offset:17792                           // 000000017EA4: D86C4580 4E000007
	ds_read_b32 v79, v7 offset:17856                           // 000000017EAC: D86C45C0 4F000007
	v_cvt_f32_i32_e32 v192, v192                               // 000000017EB4: 7F800BC0
	v_cvt_f32_i32_e32 v193, v193                               // 000000017EB8: 7F820BC1
	v_cvt_f32_i32_e32 v194, v194                               // 000000017EBC: 7F840BC2
	v_cvt_f32_i32_e32 v195, v195                               // 000000017EC0: 7F860BC3
	v_cvt_f32_i32_e32 v196, v196                               // 000000017EC4: 7F880BC4
	v_cvt_f32_i32_e32 v197, v197                               // 000000017EC8: 7F8A0BC5
	v_cvt_f32_i32_e32 v198, v198                               // 000000017ECC: 7F8C0BC6
	v_cvt_f32_i32_e32 v199, v199                               // 000000017ED0: 7F8E0BC7
	v_mul_f32_e32 v192, v46, v192                              // 000000017ED4: 0B81812E
	v_mul_f32_e32 v193, v46, v193                              // 000000017ED8: 0B83832E
	v_mul_f32_e32 v194, v46, v194                              // 000000017EDC: 0B85852E
	v_mul_f32_e32 v195, v46, v195                              // 000000017EE0: 0B87872E
	v_mul_f32_e32 v196, v46, v196                              // 000000017EE4: 0B89892E
	v_mul_f32_e32 v197, v46, v197                              // 000000017EE8: 0B8B8B2E
	v_mul_f32_e32 v198, v46, v198                              // 000000017EEC: 0B8D8D2E
	v_mul_f32_e32 v199, v46, v199                              // 000000017EF0: 0B8F8F2E
	s_waitcnt lgkmcnt(0)                                       // 000000017EF4: BF8CC07F
	v_max3_f32 v48, v64, v65, v48                              // 000000017EF8: D1D30030 04C28340
	v_max3_f32 v48, v66, v67, v48                              // 000000017F00: D1D30030 04C28742
	v_max3_f32 v48, v68, v69, v48                              // 000000017F08: D1D30030 04C28B44
	v_max3_f32 v48, v70, v71, v48                              // 000000017F10: D1D30030 04C28F46
	v_max3_f32 v48, v72, v73, v48                              // 000000017F18: D1D30030 04C29348
	v_max3_f32 v48, v74, v75, v48                              // 000000017F20: D1D30030 04C2974A
	v_max3_f32 v48, v76, v77, v48                              // 000000017F28: D1D30030 04C29B4C
	v_max3_f32 v48, v78, v79, v48                              // 000000017F30: D1D30030 04C29F4E
	v_mov_b32_e32 v64, 0xff800000                              // 000000017F38: 7E8002FF FF800000
	v_cmp_eq_u32_e64 s[40:41], v64, v13                        // 000000017F40: D0CA0028 00021B40
	s_nop 1                                                    // 000000017F48: BF800001
	v_max_f32_e32 v15, v48, v13                                // 000000017F4C: 161E1B30
	v_mul_f32_e32 v53, s64, v15                                // 000000017F50: 0A6A1E40
	v_fma_f32 v144, v144, s64, -v53                            // 000000017F54: D1CB0090 84D48190
	v_fma_f32 v145, v145, s64, -v53                            // 000000017F5C: D1CB0091 84D48191
	v_fma_f32 v146, v146, s64, -v53                            // 000000017F64: D1CB0092 84D48192
	v_fma_f32 v147, v147, s64, -v53                            // 000000017F6C: D1CB0093 84D48193
	v_fma_f32 v148, v148, s64, -v53                            // 000000017F74: D1CB0094 84D48194
	v_fma_f32 v149, v149, s64, -v53                            // 000000017F7C: D1CB0095 84D48195
	v_fma_f32 v150, v150, s64, -v53                            // 000000017F84: D1CB0096 84D48196
	v_fma_f32 v151, v151, s64, -v53                            // 000000017F8C: D1CB0097 84D48197
	v_fma_f32 v152, v152, s64, -v53                            // 000000017F94: D1CB0098 84D48198
	v_fma_f32 v153, v153, s64, -v53                            // 000000017F9C: D1CB0099 84D48199
	v_fma_f32 v154, v154, s64, -v53                            // 000000017FA4: D1CB009A 84D4819A
	v_fma_f32 v155, v155, s64, -v53                            // 000000017FAC: D1CB009B 84D4819B
	v_fma_f32 v156, v156, s64, -v53                            // 000000017FB4: D1CB009C 84D4819C
	v_fma_f32 v157, v157, s64, -v53                            // 000000017FBC: D1CB009D 84D4819D
	v_fma_f32 v158, v158, s64, -v53                            // 000000017FC4: D1CB009E 84D4819E
	v_fma_f32 v159, v159, s64, -v53                            // 000000017FCC: D1CB009F 84D4819F
	v_exp_f32_e32 v144, v144                                   // 000000017FD4: 7F204190
	v_exp_f32_e32 v145, v145                                   // 000000017FD8: 7F224191
	v_exp_f32_e32 v146, v146                                   // 000000017FDC: 7F244192
	v_exp_f32_e32 v147, v147                                   // 000000017FE0: 7F264193
	v_exp_f32_e32 v148, v148                                   // 000000017FE4: 7F284194
	v_exp_f32_e32 v149, v149                                   // 000000017FE8: 7F2A4195
	v_exp_f32_e32 v150, v150                                   // 000000017FEC: 7F2C4196
	v_exp_f32_e32 v151, v151                                   // 000000017FF0: 7F2E4197
	v_exp_f32_e32 v152, v152                                   // 000000017FF4: 7F304198
	v_exp_f32_e32 v153, v153                                   // 000000017FF8: 7F324199
	v_exp_f32_e32 v154, v154                                   // 000000017FFC: 7F34419A
	v_exp_f32_e32 v155, v155                                   // 000000018000: 7F36419B
	v_exp_f32_e32 v156, v156                                   // 000000018004: 7F38419C
	v_exp_f32_e32 v157, v157                                   // 000000018008: 7F3A419D
	v_exp_f32_e32 v158, v158                                   // 00000001800C: 7F3C419E
	v_exp_f32_e32 v159, v159                                   // 000000018010: 7F3E419F
	v_mul_f32_dpp v240, v252, v144 quad_perm:[0,0,0,0] row_mask:0xf bank_mask:0xf// 000000018014: 0BE120FA FF0000FC
	v_mul_f32_dpp v241, v252, v145 quad_perm:[1,1,1,1] row_mask:0xf bank_mask:0xf// 00000001801C: 0BE322FA FF0055FC
	v_mul_f32_dpp v242, v252, v146 quad_perm:[2,2,2,2] row_mask:0xf bank_mask:0xf// 000000018024: 0BE524FA FF00AAFC
	v_mul_f32_dpp v243, v252, v147 quad_perm:[3,3,3,3] row_mask:0xf bank_mask:0xf// 00000001802C: 0BE726FA FF00FFFC
	v_mul_f32_dpp v244, v253, v148 quad_perm:[0,0,0,0] row_mask:0xf bank_mask:0xf// 000000018034: 0BE928FA FF0000FD
	v_mul_f32_dpp v245, v253, v149 quad_perm:[1,1,1,1] row_mask:0xf bank_mask:0xf// 00000001803C: 0BEB2AFA FF0055FD
	v_mul_f32_dpp v246, v253, v150 quad_perm:[2,2,2,2] row_mask:0xf bank_mask:0xf// 000000018044: 0BED2CFA FF00AAFD
	v_mul_f32_dpp v247, v253, v151 quad_perm:[3,3,3,3] row_mask:0xf bank_mask:0xf// 00000001804C: 0BEF2EFA FF00FFFD
	v_mul_f32_dpp v248, v254, v152 quad_perm:[0,0,0,0] row_mask:0xf bank_mask:0xf// 000000018054: 0BF130FA FF0000FE
	v_mul_f32_dpp v249, v254, v153 quad_perm:[1,1,1,1] row_mask:0xf bank_mask:0xf// 00000001805C: 0BF332FA FF0055FE
	v_mul_f32_dpp v250, v254, v154 quad_perm:[2,2,2,2] row_mask:0xf bank_mask:0xf// 000000018064: 0BF534FA FF00AAFE
	v_mul_f32_dpp v251, v254, v155 quad_perm:[3,3,3,3] row_mask:0xf bank_mask:0xf// 00000001806C: 0BF736FA FF00FFFE
	v_mul_f32_dpp v252, v255, v156 quad_perm:[0,0,0,0] row_mask:0xf bank_mask:0xf// 000000018074: 0BF938FA FF0000FF
	v_mul_f32_dpp v253, v255, v157 quad_perm:[1,1,1,1] row_mask:0xf bank_mask:0xf// 00000001807C: 0BFB3AFA FF0055FF
	v_mul_f32_dpp v254, v255, v158 quad_perm:[2,2,2,2] row_mask:0xf bank_mask:0xf// 000000018084: 0BFD3CFA FF00AAFF
	v_mul_f32_dpp v255, v255, v159 quad_perm:[3,3,3,3] row_mask:0xf bank_mask:0xf// 00000001808C: 0BFF3EFA FF00FFFF
	v_mov_b32_e32 v48, 0x358637bd                              // 000000018094: 7E6002FF 358637BD
	v_max3_f32 v48, |v240|, |v241|, v48                        // 00000001809C: D1D30330 04C3E3F0
	v_max3_f32 v48, |v242|, |v243|, v48                        // 0000000180A4: D1D30330 04C3E7F2
	v_max3_f32 v48, |v244|, |v245|, v48                        // 0000000180AC: D1D30330 04C3EBF4
	v_max3_f32 v48, |v246|, |v247|, v48                        // 0000000180B4: D1D30330 04C3EFF6
	v_max3_f32 v48, |v248|, |v249|, v48                        // 0000000180BC: D1D30330 04C3F3F8
	v_max3_f32 v48, |v250|, |v251|, v48                        // 0000000180C4: D1D30330 04C3F7FA
	v_max3_f32 v48, |v252|, |v253|, v48                        // 0000000180CC: D1D30330 04C3FBFC
	v_max3_f32 v48, |v254|, |v255|, v48                        // 0000000180D4: D1D30330 04C3FFFE
	ds_write_b32 v8, v48 offset:20992                          // 0000000180DC: D81A5200 00003008
	v_sub_f32_e32 v51, v13, v15                                // 0000000180E4: 04661F0D
	v_cndmask_b32_e64 v51, v51, 0, s[40:41]                    // 0000000180E8: D1000033 00A10133
	v_mov_b32_e32 v13, v15                                     // 0000000180F0: 7E1A030F
	v_mul_f32_e32 v51, s64, v51                                // 0000000180F4: 0A666640
	v_exp_f32_e32 v51, v51                                     // 0000000180F8: 7E664133
	s_waitcnt lgkmcnt(0)                                       // 0000000180FC: BF8CC07F
	s_barrier                                                  // 000000018100: BF8A0000
	ds_read_b32 v64, v7 offset:20992                           // 000000018104: D86C5200 40000007
	ds_read_b32 v65, v7 offset:21056                           // 00000001810C: D86C5240 41000007
	ds_read_b32 v66, v7 offset:21120                           // 000000018114: D86C5280 42000007
	ds_read_b32 v67, v7 offset:21184                           // 00000001811C: D86C52C0 43000007
	ds_read_b32 v68, v7 offset:21248                           // 000000018124: D86C5300 44000007
	ds_read_b32 v69, v7 offset:21312                           // 00000001812C: D86C5340 45000007
	ds_read_b32 v70, v7 offset:21376                           // 000000018134: D86C5380 46000007
	ds_read_b32 v71, v7 offset:21440                           // 00000001813C: D86C53C0 47000007
	ds_read_b32 v72, v7 offset:21504                           // 000000018144: D86C5400 48000007
	ds_read_b32 v73, v7 offset:21568                           // 00000001814C: D86C5440 49000007
	ds_read_b32 v74, v7 offset:21632                           // 000000018154: D86C5480 4A000007
	ds_read_b32 v75, v7 offset:21696                           // 00000001815C: D86C54C0 4B000007
	ds_read_b32 v76, v7 offset:21760                           // 000000018164: D86C5500 4C000007
	ds_read_b32 v77, v7 offset:21824                           // 00000001816C: D86C5540 4D000007
	ds_read_b32 v78, v7 offset:21888                           // 000000018174: D86C5580 4E000007
	ds_read_b32 v79, v7 offset:21952                           // 00000001817C: D86C55C0 4F000007
	v_mul_f32_e32 v40, v51, v40                                // 000000018184: 0A505133
	v_mov_b32_e32 v15, v144                                    // 000000018188: 7E1E0390
	v_add_f32_e32 v15, v145, v15                               // 00000001818C: 021E1F91
	v_add_f32_e32 v15, v146, v15                               // 000000018190: 021E1F92
	v_add_f32_e32 v15, v147, v15                               // 000000018194: 021E1F93
	v_add_f32_e32 v15, v148, v15                               // 000000018198: 021E1F94
	v_add_f32_e32 v15, v149, v15                               // 00000001819C: 021E1F95
	v_add_f32_e32 v15, v150, v15                               // 0000000181A0: 021E1F96
	v_add_f32_e32 v15, v151, v15                               // 0000000181A4: 021E1F97
	v_add_f32_e32 v15, v152, v15                               // 0000000181A8: 021E1F98
	v_add_f32_e32 v15, v153, v15                               // 0000000181AC: 021E1F99
	v_add_f32_e32 v15, v154, v15                               // 0000000181B0: 021E1F9A
	v_add_f32_e32 v15, v155, v15                               // 0000000181B4: 021E1F9B
	v_add_f32_e32 v15, v156, v15                               // 0000000181B8: 021E1F9C
	v_add_f32_e32 v15, v157, v15                               // 0000000181BC: 021E1F9D
	v_add_f32_e32 v15, v158, v15                               // 0000000181C0: 021E1F9E
	v_add_f32_e32 v15, v159, v15                               // 0000000181C4: 021E1F9F
	v_add_f32_e32 v40, v15, v40                                // 0000000181C8: 0250510F
	s_waitcnt lgkmcnt(0)                                       // 0000000181CC: BF8CC07F
	v_max3_f32 v48, |v64|, |v65|, v48                          // 0000000181D0: D1D30330 04C28340
	v_max3_f32 v48, |v66|, |v67|, v48                          // 0000000181D8: D1D30330 04C28742
	v_max3_f32 v48, |v68|, |v69|, v48                          // 0000000181E0: D1D30330 04C28B44
	v_max3_f32 v48, |v70|, |v71|, v48                          // 0000000181E8: D1D30330 04C28F46
	v_max3_f32 v48, |v72|, |v73|, v48                          // 0000000181F0: D1D30330 04C29348
	v_max3_f32 v48, |v74|, |v75|, v48                          // 0000000181F8: D1D30330 04C2974A
	v_max3_f32 v48, |v76|, |v77|, v48                          // 000000018200: D1D30330 04C29B4C
	v_max3_f32 v48, |v78|, |v79|, v48                          // 000000018208: D1D30330 04C29F4E
	s_nop 2                                                    // 000000018210: BF800002
	v_rcp_f32_e32 v48, v48                                     // 000000018214: 7E604530
	s_nop 1                                                    // 000000018218: BF800001
	v_mul_f32_e32 v48, 0x42fe0000, v48                         // 00000001821C: 0A6060FF 42FE0000
	v_mul_f32_e32 v144, v48, v240                              // 000000018224: 0B21E130
	v_mul_f32_e32 v145, v48, v241                              // 000000018228: 0B23E330
	v_mul_f32_e32 v146, v48, v242                              // 00000001822C: 0B25E530
	v_mul_f32_e32 v147, v48, v243                              // 000000018230: 0B27E730
	v_mul_f32_e32 v148, v48, v244                              // 000000018234: 0B29E930
	v_mul_f32_e32 v149, v48, v245                              // 000000018238: 0B2BEB30
	v_mul_f32_e32 v150, v48, v246                              // 00000001823C: 0B2DED30
	v_mul_f32_e32 v151, v48, v247                              // 000000018240: 0B2FEF30
	v_mul_f32_e32 v152, v48, v248                              // 000000018244: 0B31F130
	v_mul_f32_e32 v153, v48, v249                              // 000000018248: 0B33F330
	v_mul_f32_e32 v154, v48, v250                              // 00000001824C: 0B35F530
	v_mul_f32_e32 v155, v48, v251                              // 000000018250: 0B37F730
	v_mul_f32_e32 v156, v48, v252                              // 000000018254: 0B39F930
	v_mul_f32_e32 v157, v48, v253                              // 000000018258: 0B3BFB30
	v_mul_f32_e32 v158, v48, v254                              // 00000001825C: 0B3DFD30
	v_mul_f32_e32 v159, v48, v255                              // 000000018260: 0B3FFF30
	v_cvt_i32_f32_e32 v144, v144                               // 000000018264: 7F201190
	v_cvt_i32_f32_e32 v145, v145                               // 000000018268: 7F221191
	v_cvt_i32_f32_e32 v146, v146                               // 00000001826C: 7F241192
	v_cvt_i32_f32_e32 v147, v147                               // 000000018270: 7F261193
	v_cvt_i32_f32_e32 v148, v148                               // 000000018274: 7F281194
	v_cvt_i32_f32_e32 v149, v149                               // 000000018278: 7F2A1195
	v_cvt_i32_f32_e32 v150, v150                               // 00000001827C: 7F2C1196
	v_cvt_i32_f32_e32 v151, v151                               // 000000018280: 7F2E1197
	v_cvt_i32_f32_e32 v152, v152                               // 000000018284: 7F301198
	v_cvt_i32_f32_e32 v153, v153                               // 000000018288: 7F321199
	v_cvt_i32_f32_e32 v154, v154                               // 00000001828C: 7F34119A
	v_cvt_i32_f32_e32 v155, v155                               // 000000018290: 7F36119B
	v_cvt_i32_f32_e32 v156, v156                               // 000000018294: 7F38119C
	v_cvt_i32_f32_e32 v157, v157                               // 000000018298: 7F3A119D
	v_cvt_i32_f32_e32 v158, v158                               // 00000001829C: 7F3C119E
	v_cvt_i32_f32_e32 v159, v159                               // 0000000182A0: 7F3E119F
	v_perm_b32 v144, v145, v144, s53                           // 0000000182A4: D1ED0090 00D72191
	v_perm_b32 v144, v146, v144, s54                           // 0000000182AC: D1ED0090 00DB2192
	v_perm_b32 v144, v147, v144, s55                           // 0000000182B4: D1ED0090 00DF2193
	v_perm_b32 v145, v149, v148, s53                           // 0000000182BC: D1ED0091 00D72995
	v_perm_b32 v145, v150, v145, s54                           // 0000000182C4: D1ED0091 00DB2396
	v_perm_b32 v145, v151, v145, s55                           // 0000000182CC: D1ED0091 00DF2397
	v_perm_b32 v146, v153, v152, s53                           // 0000000182D4: D1ED0092 00D73199
	v_perm_b32 v146, v154, v146, s54                           // 0000000182DC: D1ED0092 00DB259A
	v_perm_b32 v146, v155, v146, s55                           // 0000000182E4: D1ED0092 00DF259B
	v_perm_b32 v147, v157, v156, s53                           // 0000000182EC: D1ED0093 00D7399D
	v_perm_b32 v147, v158, v147, s54                           // 0000000182F4: D1ED0093 00DB279E
	v_perm_b32 v147, v159, v147, s55                           // 0000000182FC: D1ED0093 00DF279F
	ds_write_b32 v10, v144 offset:33280                        // 000000018304: D81A8200 0000900A
	ds_write_b32 v10, v145 offset:34304                        // 00000001830C: D81A8600 0000910A
	ds_write_b32 v10, v146 offset:35328                        // 000000018314: D81A8A00 0000920A
	ds_write_b32 v10, v147 offset:36352                        // 00000001831C: D81A8E00 0000930A
	v_add_f32_e32 v224, v224, v192                             // 000000018324: 03C181E0
	v_add_f32_e32 v225, v225, v193                             // 000000018328: 03C383E1
	v_add_f32_e32 v226, v226, v194                             // 00000001832C: 03C585E2
	v_add_f32_e32 v227, v227, v195                             // 000000018330: 03C787E3
	v_add_f32_e32 v228, v228, v196                             // 000000018334: 03C989E4
	v_add_f32_e32 v229, v229, v197                             // 000000018338: 03CB8BE5
	v_add_f32_e32 v230, v230, v198                             // 00000001833C: 03CD8DE6
	v_add_f32_e32 v231, v231, v199                             // 000000018340: 03CF8FE7
	v_rcp_f32_e32 v46, v48                                     // 000000018344: 7E5C4530
	s_waitcnt lgkmcnt(0)                                       // 000000018348: BF8CC07F
	s_barrier                                                  // 00000001834C: BF8A0000
	ds_read_b64 v[144:145], v9 offset:33280                    // 000000018350: D8EC8200 90000009
	ds_read_b64 v[146:147], v9 offset:33408                    // 000000018358: D8EC8280 92000009
	ds_read_b64 v[148:149], v9 offset:34304                    // 000000018360: D8EC8600 94000009
	ds_read_b64 v[150:151], v9 offset:34432                    // 000000018368: D8EC8680 96000009
	ds_read_b64 v[152:153], v9 offset:35328                    // 000000018370: D8EC8A00 98000009
	ds_read_b64 v[154:155], v9 offset:35456                    // 000000018378: D8EC8A80 9A000009
	ds_read_b64 v[156:157], v9 offset:36352                    // 000000018380: D8EC8E00 9C000009
	ds_read_b64 v[158:159], v9 offset:36480                    // 000000018388: D8EC8E80 9E000009
	s_waitcnt vmcnt(0)                                         // 000000018390: BF8C0F70
	s_barrier                                                  // 000000018394: BF8A0000
	v_mfma_i32_16x16x32_i8 v[176:179], a[64:65], v[112:113], 0 // 000000018398: D3D700B0 0A02E140
	v_mfma_i32_16x16x32_i8 v[176:179], a[66:67], v[114:115], v[176:179]// 0000000183A0: D3D700B0 0EC2E542
	v_mfma_i32_16x16x32_i8 v[176:179], a[68:69], v[116:117], v[176:179]// 0000000183A8: D3D700B0 0EC2E944
	v_mfma_i32_16x16x32_i8 v[176:179], a[70:71], v[118:119], v[176:179]// 0000000183B0: D3D700B0 0EC2ED46
	v_mfma_i32_16x16x32_i8 v[176:179], a[72:73], v[120:121], v[176:179]// 0000000183B8: D3D700B0 0EC2F148
	v_mfma_i32_16x16x32_i8 v[176:179], a[74:75], v[122:123], v[176:179]// 0000000183C0: D3D700B0 0EC2F54A
	v_mfma_i32_16x16x32_i8 v[176:179], a[76:77], v[124:125], v[176:179]// 0000000183C8: D3D700B0 0EC2F94C
	v_mfma_i32_16x16x32_i8 v[176:179], a[78:79], v[126:127], v[176:179]// 0000000183D0: D3D700B0 0EC2FD4E
	v_mfma_i32_16x16x32_i8 v[180:183], a[80:81], v[112:113], 0 // 0000000183D8: D3D700B4 0A02E150
	v_mfma_i32_16x16x32_i8 v[180:183], a[82:83], v[114:115], v[180:183]// 0000000183E0: D3D700B4 0ED2E552
	v_mfma_i32_16x16x32_i8 v[180:183], a[84:85], v[116:117], v[180:183]// 0000000183E8: D3D700B4 0ED2E954
	v_mfma_i32_16x16x32_i8 v[180:183], a[86:87], v[118:119], v[180:183]// 0000000183F0: D3D700B4 0ED2ED56
	v_mfma_i32_16x16x32_i8 v[180:183], a[88:89], v[120:121], v[180:183]// 0000000183F8: D3D700B4 0ED2F158
	v_mfma_i32_16x16x32_i8 v[180:183], a[90:91], v[122:123], v[180:183]// 000000018400: D3D700B4 0ED2F55A
	v_mfma_i32_16x16x32_i8 v[180:183], a[92:93], v[124:125], v[180:183]// 000000018408: D3D700B4 0ED2F95C
	v_mfma_i32_16x16x32_i8 v[180:183], a[94:95], v[126:127], v[180:183]// 000000018410: D3D700B4 0ED2FD5E
	v_mfma_i32_16x16x32_i8 v[184:187], a[64:65], v[128:129], 0 // 000000018418: D3D700B8 0A030140
	v_mfma_i32_16x16x32_i8 v[184:187], a[66:67], v[130:131], v[184:187]// 000000018420: D3D700B8 0EE30542
	v_mfma_i32_16x16x32_i8 v[184:187], a[68:69], v[132:133], v[184:187]// 000000018428: D3D700B8 0EE30944
	v_mfma_i32_16x16x32_i8 v[184:187], a[70:71], v[134:135], v[184:187]// 000000018430: D3D700B8 0EE30D46
	v_mfma_i32_16x16x32_i8 v[184:187], a[72:73], v[136:137], v[184:187]// 000000018438: D3D700B8 0EE31148
	v_mfma_i32_16x16x32_i8 v[184:187], a[74:75], v[138:139], v[184:187]// 000000018440: D3D700B8 0EE3154A
	v_mfma_i32_16x16x32_i8 v[184:187], a[76:77], v[140:141], v[184:187]// 000000018448: D3D700B8 0EE3194C
	v_mfma_i32_16x16x32_i8 v[184:187], a[78:79], v[142:143], v[184:187]// 000000018450: D3D700B8 0EE31D4E
	v_mfma_i32_16x16x32_i8 v[188:191], a[80:81], v[128:129], 0 // 000000018458: D3D700BC 0A030150
	v_mfma_i32_16x16x32_i8 v[188:191], a[82:83], v[130:131], v[188:191]// 000000018460: D3D700BC 0EF30552
	v_mfma_i32_16x16x32_i8 v[188:191], a[84:85], v[132:133], v[188:191]// 000000018468: D3D700BC 0EF30954
	v_mfma_i32_16x16x32_i8 v[188:191], a[86:87], v[134:135], v[188:191]// 000000018470: D3D700BC 0EF30D56
	v_mfma_i32_16x16x32_i8 v[188:191], a[88:89], v[136:137], v[188:191]// 000000018478: D3D700BC 0EF31158
	v_mfma_i32_16x16x32_i8 v[188:191], a[90:91], v[138:139], v[188:191]// 000000018480: D3D700BC 0EF3155A
	v_mfma_i32_16x16x32_i8 v[188:191], a[92:93], v[140:141], v[188:191]// 000000018488: D3D700BC 0EF3195C
	v_mfma_i32_16x16x32_i8 v[188:191], a[94:95], v[142:143], v[188:191]// 000000018490: D3D700BC 0EF31D5E
	v_mfma_i32_16x16x32_i8 v[192:195], a[64:65], v[144:145], 0 // 000000018498: D3D700C0 0A032140
	v_mfma_i32_16x16x32_i8 v[192:195], a[66:67], v[146:147], v[192:195]// 0000000184A0: D3D700C0 0F032542
	v_mfma_i32_16x16x32_i8 v[192:195], a[68:69], v[148:149], v[192:195]// 0000000184A8: D3D700C0 0F032944
	v_mfma_i32_16x16x32_i8 v[192:195], a[70:71], v[150:151], v[192:195]// 0000000184B0: D3D700C0 0F032D46
	v_mfma_i32_16x16x32_i8 v[192:195], a[72:73], v[152:153], v[192:195]// 0000000184B8: D3D700C0 0F033148
	v_mfma_i32_16x16x32_i8 v[192:195], a[74:75], v[154:155], v[192:195]// 0000000184C0: D3D700C0 0F03354A
	v_mfma_i32_16x16x32_i8 v[192:195], a[76:77], v[156:157], v[192:195]// 0000000184C8: D3D700C0 0F03394C
	v_mfma_i32_16x16x32_i8 v[192:195], a[78:79], v[158:159], v[192:195]// 0000000184D0: D3D700C0 0F033D4E
	v_mfma_i32_16x16x32_i8 v[196:199], a[80:81], v[144:145], 0 // 0000000184D8: D3D700C4 0A032150
	v_mfma_i32_16x16x32_i8 v[196:199], a[82:83], v[146:147], v[196:199]// 0000000184E0: D3D700C4 0F132552
	v_mfma_i32_16x16x32_i8 v[196:199], a[84:85], v[148:149], v[196:199]// 0000000184E8: D3D700C4 0F132954
	v_mfma_i32_16x16x32_i8 v[196:199], a[86:87], v[150:151], v[196:199]// 0000000184F0: D3D700C4 0F132D56
	v_mfma_i32_16x16x32_i8 v[196:199], a[88:89], v[152:153], v[196:199]// 0000000184F8: D3D700C4 0F133158
	v_mfma_i32_16x16x32_i8 v[196:199], a[90:91], v[154:155], v[196:199]// 000000018500: D3D700C4 0F13355A
	v_mfma_i32_16x16x32_i8 v[196:199], a[92:93], v[156:157], v[196:199]// 000000018508: D3D700C4 0F13395C
	v_mfma_i32_16x16x32_i8 v[196:199], a[94:95], v[158:159], v[196:199]// 000000018510: D3D700C4 0F133D5E
	s_nop 4                                                    // 000000018518: BF800004
	s_branch label_6096                                        // 00000001851C: BF8207CE

0000000000018520 <label_58C8>:
	s_waitcnt vmcnt(8) lgkmcnt(0)                              // 000000018520: BF8C0078
	s_barrier                                                  // 000000018524: BF8A0000
	v_mfma_i32_16x16x32_i8 v[112:115], a[32:33], v[80:81], 0   // 000000018528: D3D70070 0A02A120
	v_mfma_i32_16x16x32_i8 v[112:115], a[34:35], v[82:83], v[112:115]// 000000018530: D3D70070 0DC2A522
	v_mfma_i32_16x16x32_i8 v[112:115], a[36:37], v[84:85], v[112:115]// 000000018538: D3D70070 0DC2A924
	v_mfma_i32_16x16x32_i8 v[112:115], a[38:39], v[86:87], v[112:115]// 000000018540: D3D70070 0DC2AD26
	v_mfma_i32_16x16x32_i8 v[116:119], a[40:41], v[80:81], 0   // 000000018548: D3D70074 0A02A128
	v_mfma_i32_16x16x32_i8 v[116:119], a[42:43], v[82:83], v[116:119]// 000000018550: D3D70074 0DD2A52A
	v_mfma_i32_16x16x32_i8 v[116:119], a[44:45], v[84:85], v[116:119]// 000000018558: D3D70074 0DD2A92C
	v_mfma_i32_16x16x32_i8 v[116:119], a[46:47], v[86:87], v[116:119]// 000000018560: D3D70074 0DD2AD2E
	v_mfma_i32_16x16x32_i8 v[120:123], a[48:49], v[80:81], 0   // 000000018568: D3D70078 0A02A130
	v_mfma_i32_16x16x32_i8 v[120:123], a[50:51], v[82:83], v[120:123]// 000000018570: D3D70078 0DE2A532
	v_mfma_i32_16x16x32_i8 v[120:123], a[52:53], v[84:85], v[120:123]// 000000018578: D3D70078 0DE2A934
	v_mfma_i32_16x16x32_i8 v[120:123], a[54:55], v[86:87], v[120:123]// 000000018580: D3D70078 0DE2AD36
	v_mfma_i32_16x16x32_i8 v[124:127], a[56:57], v[80:81], 0   // 000000018588: D3D7007C 0A02A138
	v_mfma_i32_16x16x32_i8 v[124:127], a[58:59], v[82:83], v[124:127]// 000000018590: D3D7007C 0DF2A53A
	v_mfma_i32_16x16x32_i8 v[124:127], a[60:61], v[84:85], v[124:127]// 000000018598: D3D7007C 0DF2A93C
	v_mfma_i32_16x16x32_i8 v[124:127], a[62:63], v[86:87], v[124:127]// 0000000185A0: D3D7007C 0DF2AD3E
	v_mfma_i32_16x16x32_i8 v[128:131], a[32:33], v[88:89], 0   // 0000000185A8: D3D70080 0A02B120
	v_mfma_i32_16x16x32_i8 v[128:131], a[34:35], v[90:91], v[128:131]// 0000000185B0: D3D70080 0E02B522
	v_mfma_i32_16x16x32_i8 v[128:131], a[36:37], v[92:93], v[128:131]// 0000000185B8: D3D70080 0E02B924
	v_mfma_i32_16x16x32_i8 v[128:131], a[38:39], v[94:95], v[128:131]// 0000000185C0: D3D70080 0E02BD26
	v_mfma_i32_16x16x32_i8 v[132:135], a[40:41], v[88:89], 0   // 0000000185C8: D3D70084 0A02B128
	v_mfma_i32_16x16x32_i8 v[132:135], a[42:43], v[90:91], v[132:135]// 0000000185D0: D3D70084 0E12B52A
	v_mfma_i32_16x16x32_i8 v[132:135], a[44:45], v[92:93], v[132:135]// 0000000185D8: D3D70084 0E12B92C
	v_mfma_i32_16x16x32_i8 v[132:135], a[46:47], v[94:95], v[132:135]// 0000000185E0: D3D70084 0E12BD2E
	v_mfma_i32_16x16x32_i8 v[136:139], a[48:49], v[88:89], 0   // 0000000185E8: D3D70088 0A02B130
	v_mfma_i32_16x16x32_i8 v[136:139], a[50:51], v[90:91], v[136:139]// 0000000185F0: D3D70088 0E22B532
	v_mfma_i32_16x16x32_i8 v[136:139], a[52:53], v[92:93], v[136:139]// 0000000185F8: D3D70088 0E22B934
	v_mfma_i32_16x16x32_i8 v[136:139], a[54:55], v[94:95], v[136:139]// 000000018600: D3D70088 0E22BD36
	v_mfma_i32_16x16x32_i8 v[140:143], a[56:57], v[88:89], 0   // 000000018608: D3D7008C 0A02B138
	v_mfma_i32_16x16x32_i8 v[140:143], a[58:59], v[90:91], v[140:143]// 000000018610: D3D7008C 0E32B53A
	v_mfma_i32_16x16x32_i8 v[140:143], a[60:61], v[92:93], v[140:143]// 000000018618: D3D7008C 0E32B93C
	v_mfma_i32_16x16x32_i8 v[140:143], a[62:63], v[94:95], v[140:143]// 000000018620: D3D7008C 0E32BD3E
	v_mfma_i32_16x16x32_i8 v[144:147], a[32:33], v[96:97], 0   // 000000018628: D3D70090 0A02C120
	v_mfma_i32_16x16x32_i8 v[144:147], a[34:35], v[98:99], v[144:147]// 000000018630: D3D70090 0E42C522
	v_mfma_i32_16x16x32_i8 v[144:147], a[36:37], v[100:101], v[144:147]// 000000018638: D3D70090 0E42C924
	v_mfma_i32_16x16x32_i8 v[144:147], a[38:39], v[102:103], v[144:147]// 000000018640: D3D70090 0E42CD26
	v_mfma_i32_16x16x32_i8 v[148:151], a[40:41], v[96:97], 0   // 000000018648: D3D70094 0A02C128
	v_mfma_i32_16x16x32_i8 v[148:151], a[42:43], v[98:99], v[148:151]// 000000018650: D3D70094 0E52C52A
	v_mfma_i32_16x16x32_i8 v[148:151], a[44:45], v[100:101], v[148:151]// 000000018658: D3D70094 0E52C92C
	v_mfma_i32_16x16x32_i8 v[148:151], a[46:47], v[102:103], v[148:151]// 000000018660: D3D70094 0E52CD2E
	v_mfma_i32_16x16x32_i8 v[152:155], a[48:49], v[96:97], 0   // 000000018668: D3D70098 0A02C130
	v_mfma_i32_16x16x32_i8 v[152:155], a[50:51], v[98:99], v[152:155]// 000000018670: D3D70098 0E62C532
	v_mfma_i32_16x16x32_i8 v[152:155], a[52:53], v[100:101], v[152:155]// 000000018678: D3D70098 0E62C934
	v_mfma_i32_16x16x32_i8 v[152:155], a[54:55], v[102:103], v[152:155]// 000000018680: D3D70098 0E62CD36
	v_mfma_i32_16x16x32_i8 v[156:159], a[56:57], v[96:97], 0   // 000000018688: D3D7009C 0A02C138
	v_mfma_i32_16x16x32_i8 v[156:159], a[58:59], v[98:99], v[156:159]// 000000018690: D3D7009C 0E72C53A
	v_mfma_i32_16x16x32_i8 v[156:159], a[60:61], v[100:101], v[156:159]// 000000018698: D3D7009C 0E72C93C
	v_mfma_i32_16x16x32_i8 v[156:159], a[62:63], v[102:103], v[156:159]// 0000000186A0: D3D7009C 0E72CD3E
	v_mov_b32_dpp v64, v43 row_shr:4 row_mask:0xf bank_mask:0xf// 0000000186A8: 7E8002FA FF01142B
	v_mov_b32_dpp v65, v43 row_shl:4 row_mask:0xf bank_mask:0xf// 0000000186B0: 7E8202FA FF01042B
	v_cndmask_b32_e64 v248, v43, v64, s[44:45]                 // 0000000186B8: D10000F8 00B2812B
	v_cndmask_b32_e64 v249, v65, v43, s[44:45]                 // 0000000186C0: D10000F9 00B25741
	v_mov_b32_dpp v64, v248 row_shr:8 row_mask:0xf bank_mask:0xf// 0000000186C8: 7E8002FA FF0118F8
	v_mov_b32_dpp v65, v248 row_shl:8 row_mask:0xf bank_mask:0xf// 0000000186D0: 7E8202FA FF0108F8
	v_mov_b32_dpp v66, v249 row_shr:8 row_mask:0xf bank_mask:0xf// 0000000186D8: 7E8402FA FF0118F9
	v_mov_b32_dpp v67, v249 row_shl:8 row_mask:0xf bank_mask:0xf// 0000000186E0: 7E8602FA FF0108F9
	v_mov_b32_e32 v68, v248                                    // 0000000186E8: 7E8803F8
	v_mov_b32_e32 v69, v249                                    // 0000000186EC: 7E8A03F9
	v_cndmask_b32_e64 v248, v68, v64, s[42:43]                 // 0000000186F0: D10000F8 00AA8144
	v_cndmask_b32_e64 v250, v68, v65, s[78:79]                 // 0000000186F8: D10000FA 013A8344
	v_cndmask_b32_e64 v249, v69, v66, s[42:43]                 // 000000018700: D10000F9 00AA8545
	v_cndmask_b32_e64 v251, v69, v67, s[78:79]                 // 000000018708: D10000FB 013A8745
	v_mov_b32_dpp v64, v58 row_shr:4 row_mask:0xf bank_mask:0xf// 000000018710: 7E8002FA FF01143A
	v_mov_b32_dpp v65, v58 row_shl:4 row_mask:0xf bank_mask:0xf// 000000018718: 7E8202FA FF01043A
	v_cndmask_b32_e64 v252, v58, v64, s[44:45]                 // 000000018720: D10000FC 00B2813A
	v_cndmask_b32_e64 v253, v65, v58, s[44:45]                 // 000000018728: D10000FD 00B27541
	v_mov_b32_dpp v64, v252 row_shr:8 row_mask:0xf bank_mask:0xf// 000000018730: 7E8002FA FF0118FC
	v_mov_b32_dpp v65, v252 row_shl:8 row_mask:0xf bank_mask:0xf// 000000018738: 7E8202FA FF0108FC
	v_mov_b32_dpp v66, v253 row_shr:8 row_mask:0xf bank_mask:0xf// 000000018740: 7E8402FA FF0118FD
	v_mov_b32_dpp v67, v253 row_shl:8 row_mask:0xf bank_mask:0xf// 000000018748: 7E8602FA FF0108FD
	v_mov_b32_e32 v68, v252                                    // 000000018750: 7E8803FC
	v_mov_b32_e32 v69, v253                                    // 000000018754: 7E8A03FD
	v_cndmask_b32_e64 v252, v68, v64, s[42:43]                 // 000000018758: D10000FC 00AA8144
	v_cndmask_b32_e64 v254, v68, v65, s[78:79]                 // 000000018760: D10000FE 013A8344
	v_cndmask_b32_e64 v253, v69, v66, s[42:43]                 // 000000018768: D10000FD 00AA8545
	v_cndmask_b32_e64 v255, v69, v67, s[78:79]                 // 000000018770: D10000FF 013A8745
	v_cvt_f32_i32_e32 v112, v112                               // 000000018778: 7EE00B70
	v_cvt_f32_i32_e32 v113, v113                               // 00000001877C: 7EE20B71
	v_cvt_f32_i32_e32 v114, v114                               // 000000018780: 7EE40B72
	v_cvt_f32_i32_e32 v115, v115                               // 000000018784: 7EE60B73
	v_cvt_f32_i32_e32 v116, v116                               // 000000018788: 7EE80B74
	v_cvt_f32_i32_e32 v117, v117                               // 00000001878C: 7EEA0B75
	v_cvt_f32_i32_e32 v118, v118                               // 000000018790: 7EEC0B76
	v_cvt_f32_i32_e32 v119, v119                               // 000000018794: 7EEE0B77
	v_cvt_f32_i32_e32 v120, v120                               // 000000018798: 7EF00B78
	v_cvt_f32_i32_e32 v121, v121                               // 00000001879C: 7EF20B79
	v_cvt_f32_i32_e32 v122, v122                               // 0000000187A0: 7EF40B7A
	v_cvt_f32_i32_e32 v123, v123                               // 0000000187A4: 7EF60B7B
	v_cvt_f32_i32_e32 v124, v124                               // 0000000187A8: 7EF80B7C
	v_cvt_f32_i32_e32 v125, v125                               // 0000000187AC: 7EFA0B7D
	v_cvt_f32_i32_e32 v126, v126                               // 0000000187B0: 7EFC0B7E
	v_cvt_f32_i32_e32 v127, v127                               // 0000000187B4: 7EFE0B7F
	v_mul_f32_e32 v112, v18, v112                              // 0000000187B8: 0AE0E112
	v_mul_f32_e32 v113, v18, v113                              // 0000000187BC: 0AE2E312
	v_mul_f32_e32 v114, v18, v114                              // 0000000187C0: 0AE4E512
	v_mul_f32_e32 v115, v18, v115                              // 0000000187C4: 0AE6E712
	v_mul_f32_e32 v116, v18, v116                              // 0000000187C8: 0AE8E912
	v_mul_f32_e32 v117, v18, v117                              // 0000000187CC: 0AEAEB12
	v_mul_f32_e32 v118, v18, v118                              // 0000000187D0: 0AECED12
	v_mul_f32_e32 v119, v18, v119                              // 0000000187D4: 0AEEEF12
	v_mul_f32_e32 v120, v18, v120                              // 0000000187D8: 0AF0F112
	v_mul_f32_e32 v121, v18, v121                              // 0000000187DC: 0AF2F312
	v_mul_f32_e32 v122, v18, v122                              // 0000000187E0: 0AF4F512
	v_mul_f32_e32 v123, v18, v123                              // 0000000187E4: 0AF6F712
	v_mul_f32_e32 v124, v18, v124                              // 0000000187E8: 0AF8F912
	v_mul_f32_e32 v125, v18, v125                              // 0000000187EC: 0AFAFB12
	v_mul_f32_e32 v126, v18, v126                              // 0000000187F0: 0AFCFD12
	v_mul_f32_e32 v127, v18, v127                              // 0000000187F4: 0AFEFF12
	v_mul_f32_dpp v112, v248, v112 quad_perm:[0,0,0,0] row_mask:0xf bank_mask:0xf// 0000000187F8: 0AE0E0FA FF0000F8
	v_mul_f32_dpp v113, v248, v113 quad_perm:[1,1,1,1] row_mask:0xf bank_mask:0xf// 000000018800: 0AE2E2FA FF0055F8
	v_mul_f32_dpp v114, v248, v114 quad_perm:[2,2,2,2] row_mask:0xf bank_mask:0xf// 000000018808: 0AE4E4FA FF00AAF8
	v_mul_f32_dpp v115, v248, v115 quad_perm:[3,3,3,3] row_mask:0xf bank_mask:0xf// 000000018810: 0AE6E6FA FF00FFF8
	v_mul_f32_dpp v116, v249, v116 quad_perm:[0,0,0,0] row_mask:0xf bank_mask:0xf// 000000018818: 0AE8E8FA FF0000F9
	v_mul_f32_dpp v117, v249, v117 quad_perm:[1,1,1,1] row_mask:0xf bank_mask:0xf// 000000018820: 0AEAEAFA FF0055F9
	v_mul_f32_dpp v118, v249, v118 quad_perm:[2,2,2,2] row_mask:0xf bank_mask:0xf// 000000018828: 0AECECFA FF00AAF9
	v_mul_f32_dpp v119, v249, v119 quad_perm:[3,3,3,3] row_mask:0xf bank_mask:0xf// 000000018830: 0AEEEEFA FF00FFF9
	v_mul_f32_dpp v120, v250, v120 quad_perm:[0,0,0,0] row_mask:0xf bank_mask:0xf// 000000018838: 0AF0F0FA FF0000FA
	v_mul_f32_dpp v121, v250, v121 quad_perm:[1,1,1,1] row_mask:0xf bank_mask:0xf// 000000018840: 0AF2F2FA FF0055FA
	v_mul_f32_dpp v122, v250, v122 quad_perm:[2,2,2,2] row_mask:0xf bank_mask:0xf// 000000018848: 0AF4F4FA FF00AAFA
	v_mul_f32_dpp v123, v250, v123 quad_perm:[3,3,3,3] row_mask:0xf bank_mask:0xf// 000000018850: 0AF6F6FA FF00FFFA
	v_mul_f32_dpp v124, v251, v124 quad_perm:[0,0,0,0] row_mask:0xf bank_mask:0xf// 000000018858: 0AF8F8FA FF0000FB
	v_mul_f32_dpp v125, v251, v125 quad_perm:[1,1,1,1] row_mask:0xf bank_mask:0xf// 000000018860: 0AFAFAFA FF0055FB
	v_mul_f32_dpp v126, v251, v126 quad_perm:[2,2,2,2] row_mask:0xf bank_mask:0xf// 000000018868: 0AFCFCFA FF00AAFB
	v_mul_f32_dpp v127, v251, v127 quad_perm:[3,3,3,3] row_mask:0xf bank_mask:0xf// 000000018870: 0AFEFEFA FF00FFFB
	s_and_b32 s60, s72, 0xff                                   // 000000018878: 863CFF48 000000FF
	v_mov_b32_e32 v65, s60                                     // 000000018880: 7E82023C
	v_lshrrev_b32_e32 v240, 4, v0                              // 000000018884: 21E00084
	v_mul_i32_i24_e32 v240, 4, v240                            // 000000018888: 0DE1E084
	s_mul_i32 s60, s7, 16                                      // 00000001888C: 923C9007
	v_add_u32_e32 v240, s60, v240                              // 000000018890: 69E1E03C
	v_add_u32_e32 v241, 1, v240                                // 000000018894: 69E3E081
	v_add_u32_e32 v242, 2, v240                                // 000000018898: 69E5E082
	v_add_u32_e32 v243, 3, v240                                // 00000001889C: 69E7E083
	v_mov_b32_e32 v64, 0xff800000                              // 0000000188A0: 7E8002FF FF800000
	v_cmp_lt_u32_e64 s[40:41], v240, v65                       // 0000000188A8: D0C90028 000283F0
	v_add_u32_e32 v240, 64, v240                               // 0000000188B0: 69E1E0C0
	s_nop 0                                                    // 0000000188B4: BF800000
	v_cndmask_b32_e64 v112, v64, v112, s[40:41]                // 0000000188B8: D1000070 00A2E140
	v_cmp_lt_u32_e64 s[40:41], v241, v65                       // 0000000188C0: D0C90028 000283F1
	v_add_u32_e32 v241, 64, v241                               // 0000000188C8: 69E3E2C0
	s_nop 0                                                    // 0000000188CC: BF800000
	v_cndmask_b32_e64 v113, v64, v113, s[40:41]                // 0000000188D0: D1000071 00A2E340
	v_cmp_lt_u32_e64 s[40:41], v242, v65                       // 0000000188D8: D0C90028 000283F2
	v_add_u32_e32 v242, 64, v242                               // 0000000188E0: 69E5E4C0
	s_nop 0                                                    // 0000000188E4: BF800000
	v_cndmask_b32_e64 v114, v64, v114, s[40:41]                // 0000000188E8: D1000072 00A2E540
	v_cmp_lt_u32_e64 s[40:41], v243, v65                       // 0000000188F0: D0C90028 000283F3
	v_add_u32_e32 v243, 64, v243                               // 0000000188F8: 69E7E6C0
	s_nop 0                                                    // 0000000188FC: BF800000
	v_cndmask_b32_e64 v115, v64, v115, s[40:41]                // 000000018900: D1000073 00A2E740
	v_cmp_lt_u32_e64 s[40:41], v240, v65                       // 000000018908: D0C90028 000283F0
	v_add_u32_e32 v240, 64, v240                               // 000000018910: 69E1E0C0
	s_nop 0                                                    // 000000018914: BF800000
	v_cndmask_b32_e64 v116, v64, v116, s[40:41]                // 000000018918: D1000074 00A2E940
	v_cmp_lt_u32_e64 s[40:41], v241, v65                       // 000000018920: D0C90028 000283F1
	v_add_u32_e32 v241, 64, v241                               // 000000018928: 69E3E2C0
	s_nop 0                                                    // 00000001892C: BF800000
	v_cndmask_b32_e64 v117, v64, v117, s[40:41]                // 000000018930: D1000075 00A2EB40
	v_cmp_lt_u32_e64 s[40:41], v242, v65                       // 000000018938: D0C90028 000283F2
	v_add_u32_e32 v242, 64, v242                               // 000000018940: 69E5E4C0
	s_nop 0                                                    // 000000018944: BF800000
	v_cndmask_b32_e64 v118, v64, v118, s[40:41]                // 000000018948: D1000076 00A2ED40
	v_cmp_lt_u32_e64 s[40:41], v243, v65                       // 000000018950: D0C90028 000283F3
	v_add_u32_e32 v243, 64, v243                               // 000000018958: 69E7E6C0
	s_nop 0                                                    // 00000001895C: BF800000
	v_cndmask_b32_e64 v119, v64, v119, s[40:41]                // 000000018960: D1000077 00A2EF40
	v_cmp_lt_u32_e64 s[40:41], v240, v65                       // 000000018968: D0C90028 000283F0
	v_add_u32_e32 v240, 64, v240                               // 000000018970: 69E1E0C0
	s_nop 0                                                    // 000000018974: BF800000
	v_cndmask_b32_e64 v120, v64, v120, s[40:41]                // 000000018978: D1000078 00A2F140
	v_cmp_lt_u32_e64 s[40:41], v241, v65                       // 000000018980: D0C90028 000283F1
	v_add_u32_e32 v241, 64, v241                               // 000000018988: 69E3E2C0
	s_nop 0                                                    // 00000001898C: BF800000
	v_cndmask_b32_e64 v121, v64, v121, s[40:41]                // 000000018990: D1000079 00A2F340
	v_cmp_lt_u32_e64 s[40:41], v242, v65                       // 000000018998: D0C90028 000283F2
	v_add_u32_e32 v242, 64, v242                               // 0000000189A0: 69E5E4C0
	s_nop 0                                                    // 0000000189A4: BF800000
	v_cndmask_b32_e64 v122, v64, v122, s[40:41]                // 0000000189A8: D100007A 00A2F540
	v_cmp_lt_u32_e64 s[40:41], v243, v65                       // 0000000189B0: D0C90028 000283F3
	v_add_u32_e32 v243, 64, v243                               // 0000000189B8: 69E7E6C0
	s_nop 0                                                    // 0000000189BC: BF800000
	v_cndmask_b32_e64 v123, v64, v123, s[40:41]                // 0000000189C0: D100007B 00A2F740
	v_cmp_lt_u32_e64 s[40:41], v240, v65                       // 0000000189C8: D0C90028 000283F0
	v_add_u32_e32 v240, 64, v240                               // 0000000189D0: 69E1E0C0
	s_nop 0                                                    // 0000000189D4: BF800000
	v_cndmask_b32_e64 v124, v64, v124, s[40:41]                // 0000000189D8: D100007C 00A2F940
	v_cmp_lt_u32_e64 s[40:41], v241, v65                       // 0000000189E0: D0C90028 000283F1
	v_add_u32_e32 v241, 64, v241                               // 0000000189E8: 69E3E2C0
	s_nop 0                                                    // 0000000189EC: BF800000
	v_cndmask_b32_e64 v125, v64, v125, s[40:41]                // 0000000189F0: D100007D 00A2FB40
	v_cmp_lt_u32_e64 s[40:41], v242, v65                       // 0000000189F8: D0C90028 000283F2
	v_add_u32_e32 v242, 64, v242                               // 000000018A00: 69E5E4C0
	s_nop 0                                                    // 000000018A04: BF800000
	v_cndmask_b32_e64 v126, v64, v126, s[40:41]                // 000000018A08: D100007E 00A2FD40
	v_cmp_lt_u32_e64 s[40:41], v243, v65                       // 000000018A10: D0C90028 000283F3
	v_add_u32_e32 v243, 64, v243                               // 000000018A18: 69E7E6C0
	s_nop 0                                                    // 000000018A1C: BF800000
	v_cndmask_b32_e64 v127, v64, v127, s[40:41]                // 000000018A20: D100007F 00A2FF40
	v_mov_b32_e32 v48, v112                                    // 000000018A28: 7E600370
	v_max3_f32 v48, v112, v113, v48                            // 000000018A2C: D1D30030 04C2E370
	v_max3_f32 v48, v114, v115, v48                            // 000000018A34: D1D30030 04C2E772
	v_max3_f32 v48, v116, v117, v48                            // 000000018A3C: D1D30030 04C2EB74
	v_max3_f32 v48, v118, v119, v48                            // 000000018A44: D1D30030 04C2EF76
	v_max3_f32 v48, v120, v121, v48                            // 000000018A4C: D1D30030 04C2F378
	v_max3_f32 v48, v122, v123, v48                            // 000000018A54: D1D30030 04C2F77A
	v_max3_f32 v48, v124, v125, v48                            // 000000018A5C: D1D30030 04C2FB7C
	v_max3_f32 v48, v126, v127, v48                            // 000000018A64: D1D30030 04C2FF7E
	ds_write_b32 v8, v48 offset:16896                          // 000000018A6C: D81A4200 00003008
	v_mul_u32_u24_dpp v64, v16, v54 row_newbcast:1 row_mask:0xf bank_mask:0xf// 000000018A74: 10806CFA FF015110
	v_mul_u32_u24_dpp v65, v16, v54 row_newbcast:5 row_mask:0xf bank_mask:0xf// 000000018A7C: 10826CFA FF015510
	v_mul_u32_u24_dpp v66, v16, v54 row_newbcast:9 row_mask:0xf bank_mask:0xf// 000000018A84: 10846CFA FF015910
	v_mul_u32_u24_dpp v67, v16, v54 row_newbcast:13 row_mask:0xf bank_mask:0xf// 000000018A8C: 10866CFA FF015D10
	v_add_u32_e32 v30, v64, v6                                 // 000000018A94: 683C0D40
	v_add_u32_e32 v31, v65, v6                                 // 000000018A98: 683E0D41
	v_add_u32_e32 v32, v66, v6                                 // 000000018A9C: 68400D42
	v_add_u32_e32 v33, v67, v6                                 // 000000018AA0: 68420D43
	v_mul_f32_e32 v208, v49, v208                              // 000000018AA4: 0BA1A131
	v_mul_f32_e32 v209, v49, v209                              // 000000018AA8: 0BA3A331
	v_mul_f32_e32 v210, v49, v210                              // 000000018AAC: 0BA5A531
	v_mul_f32_e32 v211, v49, v211                              // 000000018AB0: 0BA7A731
	v_mul_f32_e32 v212, v49, v212                              // 000000018AB4: 0BA9A931
	v_mul_f32_e32 v213, v49, v213                              // 000000018AB8: 0BABAB31
	v_mul_f32_e32 v214, v49, v214                              // 000000018ABC: 0BADAD31
	v_mul_f32_e32 v215, v49, v215                              // 000000018AC0: 0BAFAF31
	s_waitcnt lgkmcnt(0)                                       // 000000018AC4: BF8CC07F
	s_barrier                                                  // 000000018AC8: BF8A0000
	ds_read_b32 v64, v7 offset:16896                           // 000000018ACC: D86C4200 40000007
	ds_read_b32 v65, v7 offset:16960                           // 000000018AD4: D86C4240 41000007
	ds_read_b32 v66, v7 offset:17024                           // 000000018ADC: D86C4280 42000007
	ds_read_b32 v67, v7 offset:17088                           // 000000018AE4: D86C42C0 43000007
	ds_read_b32 v68, v7 offset:17152                           // 000000018AEC: D86C4300 44000007
	ds_read_b32 v69, v7 offset:17216                           // 000000018AF4: D86C4340 45000007
	ds_read_b32 v70, v7 offset:17280                           // 000000018AFC: D86C4380 46000007
	ds_read_b32 v71, v7 offset:17344                           // 000000018B04: D86C43C0 47000007
	ds_read_b32 v72, v7 offset:17408                           // 000000018B0C: D86C4400 48000007
	ds_read_b32 v73, v7 offset:17472                           // 000000018B14: D86C4440 49000007
	ds_read_b32 v74, v7 offset:17536                           // 000000018B1C: D86C4480 4A000007
	ds_read_b32 v75, v7 offset:17600                           // 000000018B24: D86C44C0 4B000007
	ds_read_b32 v76, v7 offset:17664                           // 000000018B2C: D86C4500 4C000007
	ds_read_b32 v77, v7 offset:17728                           // 000000018B34: D86C4540 4D000007
	ds_read_b32 v78, v7 offset:17792                           // 000000018B3C: D86C4580 4E000007
	ds_read_b32 v79, v7 offset:17856                           // 000000018B44: D86C45C0 4F000007
	v_cvt_f32_i32_e32 v176, v176                               // 000000018B4C: 7F600BB0
	v_cvt_f32_i32_e32 v177, v177                               // 000000018B50: 7F620BB1
	v_cvt_f32_i32_e32 v178, v178                               // 000000018B54: 7F640BB2
	v_cvt_f32_i32_e32 v179, v179                               // 000000018B58: 7F660BB3
	v_cvt_f32_i32_e32 v180, v180                               // 000000018B5C: 7F680BB4
	v_cvt_f32_i32_e32 v181, v181                               // 000000018B60: 7F6A0BB5
	v_cvt_f32_i32_e32 v182, v182                               // 000000018B64: 7F6C0BB6
	v_cvt_f32_i32_e32 v183, v183                               // 000000018B68: 7F6E0BB7
	v_mul_f32_e32 v176, v44, v176                              // 000000018B6C: 0B61612C
	v_mul_f32_e32 v177, v44, v177                              // 000000018B70: 0B63632C
	v_mul_f32_e32 v178, v44, v178                              // 000000018B74: 0B65652C
	v_mul_f32_e32 v179, v44, v179                              // 000000018B78: 0B67672C
	v_mul_f32_e32 v180, v44, v180                              // 000000018B7C: 0B69692C
	v_mul_f32_e32 v181, v44, v181                              // 000000018B80: 0B6B6B2C
	v_mul_f32_e32 v182, v44, v182                              // 000000018B84: 0B6D6D2C
	v_mul_f32_e32 v183, v44, v183                              // 000000018B88: 0B6F6F2C
	s_waitcnt lgkmcnt(0)                                       // 000000018B8C: BF8CC07F
	v_max3_f32 v48, v64, v65, v48                              // 000000018B90: D1D30030 04C28340
	v_max3_f32 v48, v66, v67, v48                              // 000000018B98: D1D30030 04C28742
	v_max3_f32 v48, v68, v69, v48                              // 000000018BA0: D1D30030 04C28B44
	v_max3_f32 v48, v70, v71, v48                              // 000000018BA8: D1D30030 04C28F46
	v_max3_f32 v48, v72, v73, v48                              // 000000018BB0: D1D30030 04C29348
	v_max3_f32 v48, v74, v75, v48                              // 000000018BB8: D1D30030 04C2974A
	v_max3_f32 v48, v76, v77, v48                              // 000000018BC0: D1D30030 04C29B4C
	v_max3_f32 v48, v78, v79, v48                              // 000000018BC8: D1D30030 04C29F4E
	v_mov_b32_e32 v64, 0xff800000                              // 000000018BD0: 7E8002FF FF800000
	v_cmp_eq_u32_e64 s[40:41], v64, v11                        // 000000018BD8: D0CA0028 00021740
	s_nop 1                                                    // 000000018BE0: BF800001
	v_max_f32_e32 v15, v48, v11                                // 000000018BE4: 161E1730
	v_mul_f32_e32 v53, s64, v15                                // 000000018BE8: 0A6A1E40
	v_fma_f32 v112, v112, s64, -v53                            // 000000018BEC: D1CB0070 84D48170
	v_fma_f32 v113, v113, s64, -v53                            // 000000018BF4: D1CB0071 84D48171
	v_fma_f32 v114, v114, s64, -v53                            // 000000018BFC: D1CB0072 84D48172
	v_fma_f32 v115, v115, s64, -v53                            // 000000018C04: D1CB0073 84D48173
	v_fma_f32 v116, v116, s64, -v53                            // 000000018C0C: D1CB0074 84D48174
	v_fma_f32 v117, v117, s64, -v53                            // 000000018C14: D1CB0075 84D48175
	v_fma_f32 v118, v118, s64, -v53                            // 000000018C1C: D1CB0076 84D48176
	v_fma_f32 v119, v119, s64, -v53                            // 000000018C24: D1CB0077 84D48177
	v_fma_f32 v120, v120, s64, -v53                            // 000000018C2C: D1CB0078 84D48178
	v_fma_f32 v121, v121, s64, -v53                            // 000000018C34: D1CB0079 84D48179
	v_fma_f32 v122, v122, s64, -v53                            // 000000018C3C: D1CB007A 84D4817A
	v_fma_f32 v123, v123, s64, -v53                            // 000000018C44: D1CB007B 84D4817B
	v_fma_f32 v124, v124, s64, -v53                            // 000000018C4C: D1CB007C 84D4817C
	v_fma_f32 v125, v125, s64, -v53                            // 000000018C54: D1CB007D 84D4817D
	v_fma_f32 v126, v126, s64, -v53                            // 000000018C5C: D1CB007E 84D4817E
	v_fma_f32 v127, v127, s64, -v53                            // 000000018C64: D1CB007F 84D4817F
	v_exp_f32_e32 v112, v112                                   // 000000018C6C: 7EE04170
	v_exp_f32_e32 v113, v113                                   // 000000018C70: 7EE24171
	v_exp_f32_e32 v114, v114                                   // 000000018C74: 7EE44172
	v_exp_f32_e32 v115, v115                                   // 000000018C78: 7EE64173
	v_exp_f32_e32 v116, v116                                   // 000000018C7C: 7EE84174
	v_exp_f32_e32 v117, v117                                   // 000000018C80: 7EEA4175
	v_exp_f32_e32 v118, v118                                   // 000000018C84: 7EEC4176
	v_exp_f32_e32 v119, v119                                   // 000000018C88: 7EEE4177
	v_exp_f32_e32 v120, v120                                   // 000000018C8C: 7EF04178
	v_exp_f32_e32 v121, v121                                   // 000000018C90: 7EF24179
	v_exp_f32_e32 v122, v122                                   // 000000018C94: 7EF4417A
	v_exp_f32_e32 v123, v123                                   // 000000018C98: 7EF6417B
	v_exp_f32_e32 v124, v124                                   // 000000018C9C: 7EF8417C
	v_exp_f32_e32 v125, v125                                   // 000000018CA0: 7EFA417D
	v_exp_f32_e32 v126, v126                                   // 000000018CA4: 7EFC417E
	v_exp_f32_e32 v127, v127                                   // 000000018CA8: 7EFE417F
	v_mul_f32_dpp v240, v252, v112 quad_perm:[0,0,0,0] row_mask:0xf bank_mask:0xf// 000000018CAC: 0BE0E0FA FF0000FC
	v_mul_f32_dpp v241, v252, v113 quad_perm:[1,1,1,1] row_mask:0xf bank_mask:0xf// 000000018CB4: 0BE2E2FA FF0055FC
	v_mul_f32_dpp v242, v252, v114 quad_perm:[2,2,2,2] row_mask:0xf bank_mask:0xf// 000000018CBC: 0BE4E4FA FF00AAFC
	v_mul_f32_dpp v243, v252, v115 quad_perm:[3,3,3,3] row_mask:0xf bank_mask:0xf// 000000018CC4: 0BE6E6FA FF00FFFC
	v_mul_f32_dpp v244, v253, v116 quad_perm:[0,0,0,0] row_mask:0xf bank_mask:0xf// 000000018CCC: 0BE8E8FA FF0000FD
	v_mul_f32_dpp v245, v253, v117 quad_perm:[1,1,1,1] row_mask:0xf bank_mask:0xf// 000000018CD4: 0BEAEAFA FF0055FD
	v_mul_f32_dpp v246, v253, v118 quad_perm:[2,2,2,2] row_mask:0xf bank_mask:0xf// 000000018CDC: 0BECECFA FF00AAFD
	v_mul_f32_dpp v247, v253, v119 quad_perm:[3,3,3,3] row_mask:0xf bank_mask:0xf// 000000018CE4: 0BEEEEFA FF00FFFD
	v_mul_f32_dpp v248, v254, v120 quad_perm:[0,0,0,0] row_mask:0xf bank_mask:0xf// 000000018CEC: 0BF0F0FA FF0000FE
	v_mul_f32_dpp v249, v254, v121 quad_perm:[1,1,1,1] row_mask:0xf bank_mask:0xf// 000000018CF4: 0BF2F2FA FF0055FE
	v_mul_f32_dpp v250, v254, v122 quad_perm:[2,2,2,2] row_mask:0xf bank_mask:0xf// 000000018CFC: 0BF4F4FA FF00AAFE
	v_mul_f32_dpp v251, v254, v123 quad_perm:[3,3,3,3] row_mask:0xf bank_mask:0xf// 000000018D04: 0BF6F6FA FF00FFFE
	v_mul_f32_dpp v252, v255, v124 quad_perm:[0,0,0,0] row_mask:0xf bank_mask:0xf// 000000018D0C: 0BF8F8FA FF0000FF
	v_mul_f32_dpp v253, v255, v125 quad_perm:[1,1,1,1] row_mask:0xf bank_mask:0xf// 000000018D14: 0BFAFAFA FF0055FF
	v_mul_f32_dpp v254, v255, v126 quad_perm:[2,2,2,2] row_mask:0xf bank_mask:0xf// 000000018D1C: 0BFCFCFA FF00AAFF
	v_mul_f32_dpp v255, v255, v127 quad_perm:[3,3,3,3] row_mask:0xf bank_mask:0xf// 000000018D24: 0BFEFEFA FF00FFFF
	v_mov_b32_e32 v48, 0x358637bd                              // 000000018D2C: 7E6002FF 358637BD
	v_max3_f32 v48, |v240|, |v241|, v48                        // 000000018D34: D1D30330 04C3E3F0
	v_max3_f32 v48, |v242|, |v243|, v48                        // 000000018D3C: D1D30330 04C3E7F2
	v_max3_f32 v48, |v244|, |v245|, v48                        // 000000018D44: D1D30330 04C3EBF4
	v_max3_f32 v48, |v246|, |v247|, v48                        // 000000018D4C: D1D30330 04C3EFF6
	v_max3_f32 v48, |v248|, |v249|, v48                        // 000000018D54: D1D30330 04C3F3F8
	v_max3_f32 v48, |v250|, |v251|, v48                        // 000000018D5C: D1D30330 04C3F7FA
	v_max3_f32 v48, |v252|, |v253|, v48                        // 000000018D64: D1D30330 04C3FBFC
	v_max3_f32 v48, |v254|, |v255|, v48                        // 000000018D6C: D1D30330 04C3FFFE
	ds_write_b32 v8, v48 offset:20992                          // 000000018D74: D81A5200 00003008
	v_sub_f32_e32 v49, v11, v15                                // 000000018D7C: 04621F0B
	v_cndmask_b32_e64 v49, v49, 0, s[40:41]                    // 000000018D80: D1000031 00A10131
	v_mov_b32_e32 v11, v15                                     // 000000018D88: 7E16030F
	v_mul_f32_e32 v49, s64, v49                                // 000000018D8C: 0A626240
	v_exp_f32_e32 v49, v49                                     // 000000018D90: 7E624131
	s_waitcnt lgkmcnt(0)                                       // 000000018D94: BF8CC07F
	s_barrier                                                  // 000000018D98: BF8A0000
	ds_read_b32 v64, v7 offset:20992                           // 000000018D9C: D86C5200 40000007
	ds_read_b32 v65, v7 offset:21056                           // 000000018DA4: D86C5240 41000007
	ds_read_b32 v66, v7 offset:21120                           // 000000018DAC: D86C5280 42000007
	ds_read_b32 v67, v7 offset:21184                           // 000000018DB4: D86C52C0 43000007
	ds_read_b32 v68, v7 offset:21248                           // 000000018DBC: D86C5300 44000007
	ds_read_b32 v69, v7 offset:21312                           // 000000018DC4: D86C5340 45000007
	ds_read_b32 v70, v7 offset:21376                           // 000000018DCC: D86C5380 46000007
	ds_read_b32 v71, v7 offset:21440                           // 000000018DD4: D86C53C0 47000007
	ds_read_b32 v72, v7 offset:21504                           // 000000018DDC: D86C5400 48000007
	ds_read_b32 v73, v7 offset:21568                           // 000000018DE4: D86C5440 49000007
	ds_read_b32 v74, v7 offset:21632                           // 000000018DEC: D86C5480 4A000007
	ds_read_b32 v75, v7 offset:21696                           // 000000018DF4: D86C54C0 4B000007
	ds_read_b32 v76, v7 offset:21760                           // 000000018DFC: D86C5500 4C000007
	ds_read_b32 v77, v7 offset:21824                           // 000000018E04: D86C5540 4D000007
	ds_read_b32 v78, v7 offset:21888                           // 000000018E0C: D86C5580 4E000007
	ds_read_b32 v79, v7 offset:21952                           // 000000018E14: D86C55C0 4F000007
	v_mul_f32_e32 v38, v49, v38                                // 000000018E1C: 0A4C4D31
	v_mov_b32_e32 v15, v112                                    // 000000018E20: 7E1E0370
	v_add_f32_e32 v15, v113, v15                               // 000000018E24: 021E1F71
	v_add_f32_e32 v15, v114, v15                               // 000000018E28: 021E1F72
	v_add_f32_e32 v15, v115, v15                               // 000000018E2C: 021E1F73
	v_add_f32_e32 v15, v116, v15                               // 000000018E30: 021E1F74
	v_add_f32_e32 v15, v117, v15                               // 000000018E34: 021E1F75
	v_add_f32_e32 v15, v118, v15                               // 000000018E38: 021E1F76
	v_add_f32_e32 v15, v119, v15                               // 000000018E3C: 021E1F77
	v_add_f32_e32 v15, v120, v15                               // 000000018E40: 021E1F78
	v_add_f32_e32 v15, v121, v15                               // 000000018E44: 021E1F79
	v_add_f32_e32 v15, v122, v15                               // 000000018E48: 021E1F7A
	v_add_f32_e32 v15, v123, v15                               // 000000018E4C: 021E1F7B
	v_add_f32_e32 v15, v124, v15                               // 000000018E50: 021E1F7C
	v_add_f32_e32 v15, v125, v15                               // 000000018E54: 021E1F7D
	v_add_f32_e32 v15, v126, v15                               // 000000018E58: 021E1F7E
	v_add_f32_e32 v15, v127, v15                               // 000000018E5C: 021E1F7F
	v_add_f32_e32 v38, v15, v38                                // 000000018E60: 024C4D0F
	s_waitcnt lgkmcnt(0)                                       // 000000018E64: BF8CC07F
	v_max3_f32 v48, |v64|, |v65|, v48                          // 000000018E68: D1D30330 04C28340
	v_max3_f32 v48, |v66|, |v67|, v48                          // 000000018E70: D1D30330 04C28742
	v_max3_f32 v48, |v68|, |v69|, v48                          // 000000018E78: D1D30330 04C28B44
	v_max3_f32 v48, |v70|, |v71|, v48                          // 000000018E80: D1D30330 04C28F46
	v_max3_f32 v48, |v72|, |v73|, v48                          // 000000018E88: D1D30330 04C29348
	v_max3_f32 v48, |v74|, |v75|, v48                          // 000000018E90: D1D30330 04C2974A
	v_max3_f32 v48, |v76|, |v77|, v48                          // 000000018E98: D1D30330 04C29B4C
	v_max3_f32 v48, |v78|, |v79|, v48                          // 000000018EA0: D1D30330 04C29F4E
	s_nop 2                                                    // 000000018EA8: BF800002
	v_rcp_f32_e32 v48, v48                                     // 000000018EAC: 7E604530
	s_nop 1                                                    // 000000018EB0: BF800001
	v_mul_f32_e32 v48, 0x42fe0000, v48                         // 000000018EB4: 0A6060FF 42FE0000
	v_mul_f32_e32 v112, v48, v240                              // 000000018EBC: 0AE1E130
	v_mul_f32_e32 v113, v48, v241                              // 000000018EC0: 0AE3E330
	v_mul_f32_e32 v114, v48, v242                              // 000000018EC4: 0AE5E530
	v_mul_f32_e32 v115, v48, v243                              // 000000018EC8: 0AE7E730
	v_mul_f32_e32 v116, v48, v244                              // 000000018ECC: 0AE9E930
	v_mul_f32_e32 v117, v48, v245                              // 000000018ED0: 0AEBEB30
	v_mul_f32_e32 v118, v48, v246                              // 000000018ED4: 0AEDED30
	v_mul_f32_e32 v119, v48, v247                              // 000000018ED8: 0AEFEF30
	v_mul_f32_e32 v120, v48, v248                              // 000000018EDC: 0AF1F130
	v_mul_f32_e32 v121, v48, v249                              // 000000018EE0: 0AF3F330
	v_mul_f32_e32 v122, v48, v250                              // 000000018EE4: 0AF5F530
	v_mul_f32_e32 v123, v48, v251                              // 000000018EE8: 0AF7F730
	v_mul_f32_e32 v124, v48, v252                              // 000000018EEC: 0AF9F930
	v_mul_f32_e32 v125, v48, v253                              // 000000018EF0: 0AFBFB30
	v_mul_f32_e32 v126, v48, v254                              // 000000018EF4: 0AFDFD30
	v_mul_f32_e32 v127, v48, v255                              // 000000018EF8: 0AFFFF30
	v_cvt_i32_f32_e32 v112, v112                               // 000000018EFC: 7EE01170
	v_cvt_i32_f32_e32 v113, v113                               // 000000018F00: 7EE21171
	v_cvt_i32_f32_e32 v114, v114                               // 000000018F04: 7EE41172
	v_cvt_i32_f32_e32 v115, v115                               // 000000018F08: 7EE61173
	v_cvt_i32_f32_e32 v116, v116                               // 000000018F0C: 7EE81174
	v_cvt_i32_f32_e32 v117, v117                               // 000000018F10: 7EEA1175
	v_cvt_i32_f32_e32 v118, v118                               // 000000018F14: 7EEC1176
	v_cvt_i32_f32_e32 v119, v119                               // 000000018F18: 7EEE1177
	v_cvt_i32_f32_e32 v120, v120                               // 000000018F1C: 7EF01178
	v_cvt_i32_f32_e32 v121, v121                               // 000000018F20: 7EF21179
	v_cvt_i32_f32_e32 v122, v122                               // 000000018F24: 7EF4117A
	v_cvt_i32_f32_e32 v123, v123                               // 000000018F28: 7EF6117B
	v_cvt_i32_f32_e32 v124, v124                               // 000000018F2C: 7EF8117C
	v_cvt_i32_f32_e32 v125, v125                               // 000000018F30: 7EFA117D
	v_cvt_i32_f32_e32 v126, v126                               // 000000018F34: 7EFC117E
	v_cvt_i32_f32_e32 v127, v127                               // 000000018F38: 7EFE117F
	v_perm_b32 v112, v113, v112, s53                           // 000000018F3C: D1ED0070 00D6E171
	v_perm_b32 v112, v114, v112, s54                           // 000000018F44: D1ED0070 00DAE172
	v_perm_b32 v112, v115, v112, s55                           // 000000018F4C: D1ED0070 00DEE173
	v_perm_b32 v113, v117, v116, s53                           // 000000018F54: D1ED0071 00D6E975
	v_perm_b32 v113, v118, v113, s54                           // 000000018F5C: D1ED0071 00DAE376
	v_perm_b32 v113, v119, v113, s55                           // 000000018F64: D1ED0071 00DEE377
	v_perm_b32 v114, v121, v120, s53                           // 000000018F6C: D1ED0072 00D6F179
	v_perm_b32 v114, v122, v114, s54                           // 000000018F74: D1ED0072 00DAE57A
	v_perm_b32 v114, v123, v114, s55                           // 000000018F7C: D1ED0072 00DEE57B
	v_perm_b32 v115, v125, v124, s53                           // 000000018F84: D1ED0073 00D6F97D
	v_perm_b32 v115, v126, v115, s54                           // 000000018F8C: D1ED0073 00DAE77E
	v_perm_b32 v115, v127, v115, s55                           // 000000018F94: D1ED0073 00DEE77F
	ds_write_b32 v10, v112 offset:25088                        // 000000018F9C: D81A6200 0000700A
	ds_write_b32 v10, v113 offset:26112                        // 000000018FA4: D81A6600 0000710A
	ds_write_b32 v10, v114 offset:27136                        // 000000018FAC: D81A6A00 0000720A
	ds_write_b32 v10, v115 offset:28160                        // 000000018FB4: D81A6E00 0000730A
	v_add_f32_e32 v208, v208, v176                             // 000000018FBC: 03A161D0
	v_add_f32_e32 v209, v209, v177                             // 000000018FC0: 03A363D1
	v_add_f32_e32 v210, v210, v178                             // 000000018FC4: 03A565D2
	v_add_f32_e32 v211, v211, v179                             // 000000018FC8: 03A767D3
	v_add_f32_e32 v212, v212, v180                             // 000000018FCC: 03A969D4
	v_add_f32_e32 v213, v213, v181                             // 000000018FD0: 03AB6BD5
	v_add_f32_e32 v214, v214, v182                             // 000000018FD4: 03AD6DD6
	v_add_f32_e32 v215, v215, v183                             // 000000018FD8: 03AF6FD7
	v_rcp_f32_e32 v44, v48                                     // 000000018FDC: 7E584530
	s_waitcnt lgkmcnt(0)                                       // 000000018FE0: BF8CC07F
	s_barrier                                                  // 000000018FE4: BF8A0000
	ds_read_b64 v[112:113], v9 offset:25088                    // 000000018FE8: D8EC6200 70000009
	ds_read_b64 v[114:115], v9 offset:25216                    // 000000018FF0: D8EC6280 72000009
	ds_read_b64 v[116:117], v9 offset:26112                    // 000000018FF8: D8EC6600 74000009
	ds_read_b64 v[118:119], v9 offset:26240                    // 000000019000: D8EC6680 76000009
	ds_read_b64 v[120:121], v9 offset:27136                    // 000000019008: D8EC6A00 78000009
	ds_read_b64 v[122:123], v9 offset:27264                    // 000000019010: D8EC6A80 7A000009
	ds_read_b64 v[124:125], v9 offset:28160                    // 000000019018: D8EC6E00 7C000009
	ds_read_b64 v[126:127], v9 offset:28288                    // 000000019020: D8EC6E80 7E000009
	v_mov_b32_dpp v64, v43 row_shr:4 row_mask:0xf bank_mask:0xf// 000000019028: 7E8002FA FF01142B
	v_mov_b32_dpp v65, v43 row_shl:4 row_mask:0xf bank_mask:0xf// 000000019030: 7E8202FA FF01042B
	v_cndmask_b32_e64 v248, v43, v64, s[44:45]                 // 000000019038: D10000F8 00B2812B
	v_cndmask_b32_e64 v249, v65, v43, s[44:45]                 // 000000019040: D10000F9 00B25741
	v_mov_b32_dpp v64, v248 row_shr:8 row_mask:0xf bank_mask:0xf// 000000019048: 7E8002FA FF0118F8
	v_mov_b32_dpp v65, v248 row_shl:8 row_mask:0xf bank_mask:0xf// 000000019050: 7E8202FA FF0108F8
	v_mov_b32_dpp v66, v249 row_shr:8 row_mask:0xf bank_mask:0xf// 000000019058: 7E8402FA FF0118F9
	v_mov_b32_dpp v67, v249 row_shl:8 row_mask:0xf bank_mask:0xf// 000000019060: 7E8602FA FF0108F9
	v_mov_b32_e32 v68, v248                                    // 000000019068: 7E8803F8
	v_mov_b32_e32 v69, v249                                    // 00000001906C: 7E8A03F9
	v_cndmask_b32_e64 v248, v68, v64, s[42:43]                 // 000000019070: D10000F8 00AA8144
	v_cndmask_b32_e64 v250, v68, v65, s[78:79]                 // 000000019078: D10000FA 013A8344
	v_cndmask_b32_e64 v249, v69, v66, s[42:43]                 // 000000019080: D10000F9 00AA8545
	v_cndmask_b32_e64 v251, v69, v67, s[78:79]                 // 000000019088: D10000FB 013A8745
	v_mov_b32_dpp v64, v58 row_shr:4 row_mask:0xf bank_mask:0xf// 000000019090: 7E8002FA FF01143A
	v_mov_b32_dpp v65, v58 row_shl:4 row_mask:0xf bank_mask:0xf// 000000019098: 7E8202FA FF01043A
	v_cndmask_b32_e64 v252, v58, v64, s[44:45]                 // 0000000190A0: D10000FC 00B2813A
	v_cndmask_b32_e64 v253, v65, v58, s[44:45]                 // 0000000190A8: D10000FD 00B27541
	v_mov_b32_dpp v64, v252 row_shr:8 row_mask:0xf bank_mask:0xf// 0000000190B0: 7E8002FA FF0118FC
	v_mov_b32_dpp v65, v252 row_shl:8 row_mask:0xf bank_mask:0xf// 0000000190B8: 7E8202FA FF0108FC
	v_mov_b32_dpp v66, v253 row_shr:8 row_mask:0xf bank_mask:0xf// 0000000190C0: 7E8402FA FF0118FD
	v_mov_b32_dpp v67, v253 row_shl:8 row_mask:0xf bank_mask:0xf// 0000000190C8: 7E8602FA FF0108FD
	v_mov_b32_e32 v68, v252                                    // 0000000190D0: 7E8803FC
	v_mov_b32_e32 v69, v253                                    // 0000000190D4: 7E8A03FD
	v_cndmask_b32_e64 v252, v68, v64, s[42:43]                 // 0000000190D8: D10000FC 00AA8144
	v_cndmask_b32_e64 v254, v68, v65, s[78:79]                 // 0000000190E0: D10000FE 013A8344
	v_cndmask_b32_e64 v253, v69, v66, s[42:43]                 // 0000000190E8: D10000FD 00AA8545
	v_cndmask_b32_e64 v255, v69, v67, s[78:79]                 // 0000000190F0: D10000FF 013A8745
	v_cvt_f32_i32_e32 v128, v128                               // 0000000190F8: 7F000B80
	v_cvt_f32_i32_e32 v129, v129                               // 0000000190FC: 7F020B81
	v_cvt_f32_i32_e32 v130, v130                               // 000000019100: 7F040B82
	v_cvt_f32_i32_e32 v131, v131                               // 000000019104: 7F060B83
	v_cvt_f32_i32_e32 v132, v132                               // 000000019108: 7F080B84
	v_cvt_f32_i32_e32 v133, v133                               // 00000001910C: 7F0A0B85
	v_cvt_f32_i32_e32 v134, v134                               // 000000019110: 7F0C0B86
	v_cvt_f32_i32_e32 v135, v135                               // 000000019114: 7F0E0B87
	v_cvt_f32_i32_e32 v136, v136                               // 000000019118: 7F100B88
	v_cvt_f32_i32_e32 v137, v137                               // 00000001911C: 7F120B89
	v_cvt_f32_i32_e32 v138, v138                               // 000000019120: 7F140B8A
	v_cvt_f32_i32_e32 v139, v139                               // 000000019124: 7F160B8B
	v_cvt_f32_i32_e32 v140, v140                               // 000000019128: 7F180B8C
	v_cvt_f32_i32_e32 v141, v141                               // 00000001912C: 7F1A0B8D
	v_cvt_f32_i32_e32 v142, v142                               // 000000019130: 7F1C0B8E
	v_cvt_f32_i32_e32 v143, v143                               // 000000019134: 7F1E0B8F
	v_mul_f32_e32 v128, v19, v128                              // 000000019138: 0B010113
	v_mul_f32_e32 v129, v19, v129                              // 00000001913C: 0B030313
	v_mul_f32_e32 v130, v19, v130                              // 000000019140: 0B050513
	v_mul_f32_e32 v131, v19, v131                              // 000000019144: 0B070713
	v_mul_f32_e32 v132, v19, v132                              // 000000019148: 0B090913
	v_mul_f32_e32 v133, v19, v133                              // 00000001914C: 0B0B0B13
	v_mul_f32_e32 v134, v19, v134                              // 000000019150: 0B0D0D13
	v_mul_f32_e32 v135, v19, v135                              // 000000019154: 0B0F0F13
	v_mul_f32_e32 v136, v19, v136                              // 000000019158: 0B111113
	v_mul_f32_e32 v137, v19, v137                              // 00000001915C: 0B131313
	v_mul_f32_e32 v138, v19, v138                              // 000000019160: 0B151513
	v_mul_f32_e32 v139, v19, v139                              // 000000019164: 0B171713
	v_mul_f32_e32 v140, v19, v140                              // 000000019168: 0B191913
	v_mul_f32_e32 v141, v19, v141                              // 00000001916C: 0B1B1B13
	v_mul_f32_e32 v142, v19, v142                              // 000000019170: 0B1D1D13
	v_mul_f32_e32 v143, v19, v143                              // 000000019174: 0B1F1F13
	v_mul_f32_dpp v128, v248, v128 quad_perm:[0,0,0,0] row_mask:0xf bank_mask:0xf// 000000019178: 0B0100FA FF0000F8
	v_mul_f32_dpp v129, v248, v129 quad_perm:[1,1,1,1] row_mask:0xf bank_mask:0xf// 000000019180: 0B0302FA FF0055F8
	v_mul_f32_dpp v130, v248, v130 quad_perm:[2,2,2,2] row_mask:0xf bank_mask:0xf// 000000019188: 0B0504FA FF00AAF8
	v_mul_f32_dpp v131, v248, v131 quad_perm:[3,3,3,3] row_mask:0xf bank_mask:0xf// 000000019190: 0B0706FA FF00FFF8
	v_mul_f32_dpp v132, v249, v132 quad_perm:[0,0,0,0] row_mask:0xf bank_mask:0xf// 000000019198: 0B0908FA FF0000F9
	v_mul_f32_dpp v133, v249, v133 quad_perm:[1,1,1,1] row_mask:0xf bank_mask:0xf// 0000000191A0: 0B0B0AFA FF0055F9
	v_mul_f32_dpp v134, v249, v134 quad_perm:[2,2,2,2] row_mask:0xf bank_mask:0xf// 0000000191A8: 0B0D0CFA FF00AAF9
	v_mul_f32_dpp v135, v249, v135 quad_perm:[3,3,3,3] row_mask:0xf bank_mask:0xf// 0000000191B0: 0B0F0EFA FF00FFF9
	v_mul_f32_dpp v136, v250, v136 quad_perm:[0,0,0,0] row_mask:0xf bank_mask:0xf// 0000000191B8: 0B1110FA FF0000FA
	v_mul_f32_dpp v137, v250, v137 quad_perm:[1,1,1,1] row_mask:0xf bank_mask:0xf// 0000000191C0: 0B1312FA FF0055FA
	v_mul_f32_dpp v138, v250, v138 quad_perm:[2,2,2,2] row_mask:0xf bank_mask:0xf// 0000000191C8: 0B1514FA FF00AAFA
	v_mul_f32_dpp v139, v250, v139 quad_perm:[3,3,3,3] row_mask:0xf bank_mask:0xf// 0000000191D0: 0B1716FA FF00FFFA
	v_mul_f32_dpp v140, v251, v140 quad_perm:[0,0,0,0] row_mask:0xf bank_mask:0xf// 0000000191D8: 0B1918FA FF0000FB
	v_mul_f32_dpp v141, v251, v141 quad_perm:[1,1,1,1] row_mask:0xf bank_mask:0xf// 0000000191E0: 0B1B1AFA FF0055FB
	v_mul_f32_dpp v142, v251, v142 quad_perm:[2,2,2,2] row_mask:0xf bank_mask:0xf// 0000000191E8: 0B1D1CFA FF00AAFB
	v_mul_f32_dpp v143, v251, v143 quad_perm:[3,3,3,3] row_mask:0xf bank_mask:0xf// 0000000191F0: 0B1F1EFA FF00FFFB
	s_and_b32 s60, s72, 0xff                                   // 0000000191F8: 863CFF48 000000FF
	v_mov_b32_e32 v65, s60                                     // 000000019200: 7E82023C
	v_lshrrev_b32_e32 v240, 4, v0                              // 000000019204: 21E00084
	v_mul_i32_i24_e32 v240, 4, v240                            // 000000019208: 0DE1E084
	s_mul_i32 s60, s7, 16                                      // 00000001920C: 923C9007
	v_add_u32_e32 v240, s60, v240                              // 000000019210: 69E1E03C
	v_add_u32_e32 v241, 1, v240                                // 000000019214: 69E3E081
	v_add_u32_e32 v242, 2, v240                                // 000000019218: 69E5E082
	v_add_u32_e32 v243, 3, v240                                // 00000001921C: 69E7E083
	v_mov_b32_e32 v64, 0xff800000                              // 000000019220: 7E8002FF FF800000
	v_cmp_lt_u32_e64 s[40:41], v240, v65                       // 000000019228: D0C90028 000283F0
	v_add_u32_e32 v240, 64, v240                               // 000000019230: 69E1E0C0
	s_nop 0                                                    // 000000019234: BF800000
	v_cndmask_b32_e64 v128, v64, v128, s[40:41]                // 000000019238: D1000080 00A30140
	v_cmp_lt_u32_e64 s[40:41], v241, v65                       // 000000019240: D0C90028 000283F1
	v_add_u32_e32 v241, 64, v241                               // 000000019248: 69E3E2C0
	s_nop 0                                                    // 00000001924C: BF800000
	v_cndmask_b32_e64 v129, v64, v129, s[40:41]                // 000000019250: D1000081 00A30340
	v_cmp_lt_u32_e64 s[40:41], v242, v65                       // 000000019258: D0C90028 000283F2
	v_add_u32_e32 v242, 64, v242                               // 000000019260: 69E5E4C0
	s_nop 0                                                    // 000000019264: BF800000
	v_cndmask_b32_e64 v130, v64, v130, s[40:41]                // 000000019268: D1000082 00A30540
	v_cmp_lt_u32_e64 s[40:41], v243, v65                       // 000000019270: D0C90028 000283F3
	v_add_u32_e32 v243, 64, v243                               // 000000019278: 69E7E6C0
	s_nop 0                                                    // 00000001927C: BF800000
	v_cndmask_b32_e64 v131, v64, v131, s[40:41]                // 000000019280: D1000083 00A30740
	v_cmp_lt_u32_e64 s[40:41], v240, v65                       // 000000019288: D0C90028 000283F0
	v_add_u32_e32 v240, 64, v240                               // 000000019290: 69E1E0C0
	s_nop 0                                                    // 000000019294: BF800000
	v_cndmask_b32_e64 v132, v64, v132, s[40:41]                // 000000019298: D1000084 00A30940
	v_cmp_lt_u32_e64 s[40:41], v241, v65                       // 0000000192A0: D0C90028 000283F1
	v_add_u32_e32 v241, 64, v241                               // 0000000192A8: 69E3E2C0
	s_nop 0                                                    // 0000000192AC: BF800000
	v_cndmask_b32_e64 v133, v64, v133, s[40:41]                // 0000000192B0: D1000085 00A30B40
	v_cmp_lt_u32_e64 s[40:41], v242, v65                       // 0000000192B8: D0C90028 000283F2
	v_add_u32_e32 v242, 64, v242                               // 0000000192C0: 69E5E4C0
	s_nop 0                                                    // 0000000192C4: BF800000
	v_cndmask_b32_e64 v134, v64, v134, s[40:41]                // 0000000192C8: D1000086 00A30D40
	v_cmp_lt_u32_e64 s[40:41], v243, v65                       // 0000000192D0: D0C90028 000283F3
	v_add_u32_e32 v243, 64, v243                               // 0000000192D8: 69E7E6C0
	s_nop 0                                                    // 0000000192DC: BF800000
	v_cndmask_b32_e64 v135, v64, v135, s[40:41]                // 0000000192E0: D1000087 00A30F40
	v_cmp_lt_u32_e64 s[40:41], v240, v65                       // 0000000192E8: D0C90028 000283F0
	v_add_u32_e32 v240, 64, v240                               // 0000000192F0: 69E1E0C0
	s_nop 0                                                    // 0000000192F4: BF800000
	v_cndmask_b32_e64 v136, v64, v136, s[40:41]                // 0000000192F8: D1000088 00A31140
	v_cmp_lt_u32_e64 s[40:41], v241, v65                       // 000000019300: D0C90028 000283F1
	v_add_u32_e32 v241, 64, v241                               // 000000019308: 69E3E2C0
	s_nop 0                                                    // 00000001930C: BF800000
	v_cndmask_b32_e64 v137, v64, v137, s[40:41]                // 000000019310: D1000089 00A31340
	v_cmp_lt_u32_e64 s[40:41], v242, v65                       // 000000019318: D0C90028 000283F2
	v_add_u32_e32 v242, 64, v242                               // 000000019320: 69E5E4C0
	s_nop 0                                                    // 000000019324: BF800000
	v_cndmask_b32_e64 v138, v64, v138, s[40:41]                // 000000019328: D100008A 00A31540
	v_cmp_lt_u32_e64 s[40:41], v243, v65                       // 000000019330: D0C90028 000283F3
	v_add_u32_e32 v243, 64, v243                               // 000000019338: 69E7E6C0
	s_nop 0                                                    // 00000001933C: BF800000
	v_cndmask_b32_e64 v139, v64, v139, s[40:41]                // 000000019340: D100008B 00A31740
	v_cmp_lt_u32_e64 s[40:41], v240, v65                       // 000000019348: D0C90028 000283F0
	v_add_u32_e32 v240, 64, v240                               // 000000019350: 69E1E0C0
	s_nop 0                                                    // 000000019354: BF800000
	v_cndmask_b32_e64 v140, v64, v140, s[40:41]                // 000000019358: D100008C 00A31940
	v_cmp_lt_u32_e64 s[40:41], v241, v65                       // 000000019360: D0C90028 000283F1
	v_add_u32_e32 v241, 64, v241                               // 000000019368: 69E3E2C0
	s_nop 0                                                    // 00000001936C: BF800000
	v_cndmask_b32_e64 v141, v64, v141, s[40:41]                // 000000019370: D100008D 00A31B40
	v_cmp_lt_u32_e64 s[40:41], v242, v65                       // 000000019378: D0C90028 000283F2
	v_add_u32_e32 v242, 64, v242                               // 000000019380: 69E5E4C0
	s_nop 0                                                    // 000000019384: BF800000
	v_cndmask_b32_e64 v142, v64, v142, s[40:41]                // 000000019388: D100008E 00A31D40
	v_cmp_lt_u32_e64 s[40:41], v243, v65                       // 000000019390: D0C90028 000283F3
	v_add_u32_e32 v243, 64, v243                               // 000000019398: 69E7E6C0
	s_nop 0                                                    // 00000001939C: BF800000
	v_cndmask_b32_e64 v143, v64, v143, s[40:41]                // 0000000193A0: D100008F 00A31F40
	v_mov_b32_e32 v48, v128                                    // 0000000193A8: 7E600380
	v_max3_f32 v48, v128, v129, v48                            // 0000000193AC: D1D30030 04C30380
	v_max3_f32 v48, v130, v131, v48                            // 0000000193B4: D1D30030 04C30782
	v_max3_f32 v48, v132, v133, v48                            // 0000000193BC: D1D30030 04C30B84
	v_max3_f32 v48, v134, v135, v48                            // 0000000193C4: D1D30030 04C30F86
	v_max3_f32 v48, v136, v137, v48                            // 0000000193CC: D1D30030 04C31388
	v_max3_f32 v48, v138, v139, v48                            // 0000000193D4: D1D30030 04C3178A
	v_max3_f32 v48, v140, v141, v48                            // 0000000193DC: D1D30030 04C31B8C
	v_max3_f32 v48, v142, v143, v48                            // 0000000193E4: D1D30030 04C31F8E
	ds_write_b32 v8, v48 offset:16896                          // 0000000193EC: D81A4200 00003008
	v_mul_f32_e32 v216, v50, v216                              // 0000000193F4: 0BB1B132
	v_mul_f32_e32 v217, v50, v217                              // 0000000193F8: 0BB3B332
	v_mul_f32_e32 v218, v50, v218                              // 0000000193FC: 0BB5B532
	v_mul_f32_e32 v219, v50, v219                              // 000000019400: 0BB7B732
	v_mul_f32_e32 v220, v50, v220                              // 000000019404: 0BB9B932
	v_mul_f32_e32 v221, v50, v221                              // 000000019408: 0BBBBB32
	v_mul_f32_e32 v222, v50, v222                              // 00000001940C: 0BBDBD32
	v_mul_f32_e32 v223, v50, v223                              // 000000019410: 0BBFBF32
	s_waitcnt lgkmcnt(0)                                       // 000000019414: BF8CC07F
	s_barrier                                                  // 000000019418: BF8A0000
	ds_read_b32 v64, v7 offset:16896                           // 00000001941C: D86C4200 40000007
	ds_read_b32 v65, v7 offset:16960                           // 000000019424: D86C4240 41000007
	ds_read_b32 v66, v7 offset:17024                           // 00000001942C: D86C4280 42000007
	ds_read_b32 v67, v7 offset:17088                           // 000000019434: D86C42C0 43000007
	ds_read_b32 v68, v7 offset:17152                           // 00000001943C: D86C4300 44000007
	ds_read_b32 v69, v7 offset:17216                           // 000000019444: D86C4340 45000007
	ds_read_b32 v70, v7 offset:17280                           // 00000001944C: D86C4380 46000007
	ds_read_b32 v71, v7 offset:17344                           // 000000019454: D86C43C0 47000007
	ds_read_b32 v72, v7 offset:17408                           // 00000001945C: D86C4400 48000007
	ds_read_b32 v73, v7 offset:17472                           // 000000019464: D86C4440 49000007
	ds_read_b32 v74, v7 offset:17536                           // 00000001946C: D86C4480 4A000007
	ds_read_b32 v75, v7 offset:17600                           // 000000019474: D86C44C0 4B000007
	ds_read_b32 v76, v7 offset:17664                           // 00000001947C: D86C4500 4C000007
	ds_read_b32 v77, v7 offset:17728                           // 000000019484: D86C4540 4D000007
	ds_read_b32 v78, v7 offset:17792                           // 00000001948C: D86C4580 4E000007
	ds_read_b32 v79, v7 offset:17856                           // 000000019494: D86C45C0 4F000007
	v_cvt_f32_i32_e32 v184, v184                               // 00000001949C: 7F700BB8
	v_cvt_f32_i32_e32 v185, v185                               // 0000000194A0: 7F720BB9
	v_cvt_f32_i32_e32 v186, v186                               // 0000000194A4: 7F740BBA
	v_cvt_f32_i32_e32 v187, v187                               // 0000000194A8: 7F760BBB
	v_cvt_f32_i32_e32 v188, v188                               // 0000000194AC: 7F780BBC
	v_cvt_f32_i32_e32 v189, v189                               // 0000000194B0: 7F7A0BBD
	v_cvt_f32_i32_e32 v190, v190                               // 0000000194B4: 7F7C0BBE
	v_cvt_f32_i32_e32 v191, v191                               // 0000000194B8: 7F7E0BBF
	v_mul_f32_e32 v184, v45, v184                              // 0000000194BC: 0B71712D
	v_mul_f32_e32 v185, v45, v185                              // 0000000194C0: 0B73732D
	v_mul_f32_e32 v186, v45, v186                              // 0000000194C4: 0B75752D
	v_mul_f32_e32 v187, v45, v187                              // 0000000194C8: 0B77772D
	v_mul_f32_e32 v188, v45, v188                              // 0000000194CC: 0B79792D
	v_mul_f32_e32 v189, v45, v189                              // 0000000194D0: 0B7B7B2D
	v_mul_f32_e32 v190, v45, v190                              // 0000000194D4: 0B7D7D2D
	v_mul_f32_e32 v191, v45, v191                              // 0000000194D8: 0B7F7F2D
	s_waitcnt lgkmcnt(0)                                       // 0000000194DC: BF8CC07F
	v_max3_f32 v48, v64, v65, v48                              // 0000000194E0: D1D30030 04C28340
	v_max3_f32 v48, v66, v67, v48                              // 0000000194E8: D1D30030 04C28742
	v_max3_f32 v48, v68, v69, v48                              // 0000000194F0: D1D30030 04C28B44
	v_max3_f32 v48, v70, v71, v48                              // 0000000194F8: D1D30030 04C28F46
	v_max3_f32 v48, v72, v73, v48                              // 000000019500: D1D30030 04C29348
	v_max3_f32 v48, v74, v75, v48                              // 000000019508: D1D30030 04C2974A
	v_max3_f32 v48, v76, v77, v48                              // 000000019510: D1D30030 04C29B4C
	v_max3_f32 v48, v78, v79, v48                              // 000000019518: D1D30030 04C29F4E
	v_mov_b32_e32 v64, 0xff800000                              // 000000019520: 7E8002FF FF800000
	v_cmp_eq_u32_e64 s[40:41], v64, v12                        // 000000019528: D0CA0028 00021940
	s_nop 1                                                    // 000000019530: BF800001
	v_max_f32_e32 v15, v48, v12                                // 000000019534: 161E1930
	v_mul_f32_e32 v53, s64, v15                                // 000000019538: 0A6A1E40
	v_fma_f32 v128, v128, s64, -v53                            // 00000001953C: D1CB0080 84D48180
	v_fma_f32 v129, v129, s64, -v53                            // 000000019544: D1CB0081 84D48181
	v_fma_f32 v130, v130, s64, -v53                            // 00000001954C: D1CB0082 84D48182
	v_fma_f32 v131, v131, s64, -v53                            // 000000019554: D1CB0083 84D48183
	v_fma_f32 v132, v132, s64, -v53                            // 00000001955C: D1CB0084 84D48184
	v_fma_f32 v133, v133, s64, -v53                            // 000000019564: D1CB0085 84D48185
	v_fma_f32 v134, v134, s64, -v53                            // 00000001956C: D1CB0086 84D48186
	v_fma_f32 v135, v135, s64, -v53                            // 000000019574: D1CB0087 84D48187
	v_fma_f32 v136, v136, s64, -v53                            // 00000001957C: D1CB0088 84D48188
	v_fma_f32 v137, v137, s64, -v53                            // 000000019584: D1CB0089 84D48189
	v_fma_f32 v138, v138, s64, -v53                            // 00000001958C: D1CB008A 84D4818A
	v_fma_f32 v139, v139, s64, -v53                            // 000000019594: D1CB008B 84D4818B
	v_fma_f32 v140, v140, s64, -v53                            // 00000001959C: D1CB008C 84D4818C
	v_fma_f32 v141, v141, s64, -v53                            // 0000000195A4: D1CB008D 84D4818D
	v_fma_f32 v142, v142, s64, -v53                            // 0000000195AC: D1CB008E 84D4818E
	v_fma_f32 v143, v143, s64, -v53                            // 0000000195B4: D1CB008F 84D4818F
	v_exp_f32_e32 v128, v128                                   // 0000000195BC: 7F004180
	v_exp_f32_e32 v129, v129                                   // 0000000195C0: 7F024181
	v_exp_f32_e32 v130, v130                                   // 0000000195C4: 7F044182
	v_exp_f32_e32 v131, v131                                   // 0000000195C8: 7F064183
	v_exp_f32_e32 v132, v132                                   // 0000000195CC: 7F084184
	v_exp_f32_e32 v133, v133                                   // 0000000195D0: 7F0A4185
	v_exp_f32_e32 v134, v134                                   // 0000000195D4: 7F0C4186
	v_exp_f32_e32 v135, v135                                   // 0000000195D8: 7F0E4187
	v_exp_f32_e32 v136, v136                                   // 0000000195DC: 7F104188
	v_exp_f32_e32 v137, v137                                   // 0000000195E0: 7F124189
	v_exp_f32_e32 v138, v138                                   // 0000000195E4: 7F14418A
	v_exp_f32_e32 v139, v139                                   // 0000000195E8: 7F16418B
	v_exp_f32_e32 v140, v140                                   // 0000000195EC: 7F18418C
	v_exp_f32_e32 v141, v141                                   // 0000000195F0: 7F1A418D
	v_exp_f32_e32 v142, v142                                   // 0000000195F4: 7F1C418E
	v_exp_f32_e32 v143, v143                                   // 0000000195F8: 7F1E418F
	v_mul_f32_dpp v240, v252, v128 quad_perm:[0,0,0,0] row_mask:0xf bank_mask:0xf// 0000000195FC: 0BE100FA FF0000FC
	v_mul_f32_dpp v241, v252, v129 quad_perm:[1,1,1,1] row_mask:0xf bank_mask:0xf// 000000019604: 0BE302FA FF0055FC
	v_mul_f32_dpp v242, v252, v130 quad_perm:[2,2,2,2] row_mask:0xf bank_mask:0xf// 00000001960C: 0BE504FA FF00AAFC
	v_mul_f32_dpp v243, v252, v131 quad_perm:[3,3,3,3] row_mask:0xf bank_mask:0xf// 000000019614: 0BE706FA FF00FFFC
	v_mul_f32_dpp v244, v253, v132 quad_perm:[0,0,0,0] row_mask:0xf bank_mask:0xf// 00000001961C: 0BE908FA FF0000FD
	v_mul_f32_dpp v245, v253, v133 quad_perm:[1,1,1,1] row_mask:0xf bank_mask:0xf// 000000019624: 0BEB0AFA FF0055FD
	v_mul_f32_dpp v246, v253, v134 quad_perm:[2,2,2,2] row_mask:0xf bank_mask:0xf// 00000001962C: 0BED0CFA FF00AAFD
	v_mul_f32_dpp v247, v253, v135 quad_perm:[3,3,3,3] row_mask:0xf bank_mask:0xf// 000000019634: 0BEF0EFA FF00FFFD
	v_mul_f32_dpp v248, v254, v136 quad_perm:[0,0,0,0] row_mask:0xf bank_mask:0xf// 00000001963C: 0BF110FA FF0000FE
	v_mul_f32_dpp v249, v254, v137 quad_perm:[1,1,1,1] row_mask:0xf bank_mask:0xf// 000000019644: 0BF312FA FF0055FE
	v_mul_f32_dpp v250, v254, v138 quad_perm:[2,2,2,2] row_mask:0xf bank_mask:0xf// 00000001964C: 0BF514FA FF00AAFE
	v_mul_f32_dpp v251, v254, v139 quad_perm:[3,3,3,3] row_mask:0xf bank_mask:0xf// 000000019654: 0BF716FA FF00FFFE
	v_mul_f32_dpp v252, v255, v140 quad_perm:[0,0,0,0] row_mask:0xf bank_mask:0xf// 00000001965C: 0BF918FA FF0000FF
	v_mul_f32_dpp v253, v255, v141 quad_perm:[1,1,1,1] row_mask:0xf bank_mask:0xf// 000000019664: 0BFB1AFA FF0055FF
	v_mul_f32_dpp v254, v255, v142 quad_perm:[2,2,2,2] row_mask:0xf bank_mask:0xf// 00000001966C: 0BFD1CFA FF00AAFF
	v_mul_f32_dpp v255, v255, v143 quad_perm:[3,3,3,3] row_mask:0xf bank_mask:0xf// 000000019674: 0BFF1EFA FF00FFFF
	v_mov_b32_e32 v48, 0x358637bd                              // 00000001967C: 7E6002FF 358637BD
	v_max3_f32 v48, |v240|, |v241|, v48                        // 000000019684: D1D30330 04C3E3F0
	v_max3_f32 v48, |v242|, |v243|, v48                        // 00000001968C: D1D30330 04C3E7F2
	v_max3_f32 v48, |v244|, |v245|, v48                        // 000000019694: D1D30330 04C3EBF4
	v_max3_f32 v48, |v246|, |v247|, v48                        // 00000001969C: D1D30330 04C3EFF6
	v_max3_f32 v48, |v248|, |v249|, v48                        // 0000000196A4: D1D30330 04C3F3F8
	v_max3_f32 v48, |v250|, |v251|, v48                        // 0000000196AC: D1D30330 04C3F7FA
	v_max3_f32 v48, |v252|, |v253|, v48                        // 0000000196B4: D1D30330 04C3FBFC
	v_max3_f32 v48, |v254|, |v255|, v48                        // 0000000196BC: D1D30330 04C3FFFE
	ds_write_b32 v8, v48 offset:20992                          // 0000000196C4: D81A5200 00003008
	v_sub_f32_e32 v50, v12, v15                                // 0000000196CC: 04641F0C
	v_cndmask_b32_e64 v50, v50, 0, s[40:41]                    // 0000000196D0: D1000032 00A10132
	v_mov_b32_e32 v12, v15                                     // 0000000196D8: 7E18030F
	v_mul_f32_e32 v50, s64, v50                                // 0000000196DC: 0A646440
	v_exp_f32_e32 v50, v50                                     // 0000000196E0: 7E644132
	s_waitcnt lgkmcnt(0)                                       // 0000000196E4: BF8CC07F
	s_barrier                                                  // 0000000196E8: BF8A0000
	ds_read_b32 v64, v7 offset:20992                           // 0000000196EC: D86C5200 40000007
	ds_read_b32 v65, v7 offset:21056                           // 0000000196F4: D86C5240 41000007
	ds_read_b32 v66, v7 offset:21120                           // 0000000196FC: D86C5280 42000007
	ds_read_b32 v67, v7 offset:21184                           // 000000019704: D86C52C0 43000007
	ds_read_b32 v68, v7 offset:21248                           // 00000001970C: D86C5300 44000007
	ds_read_b32 v69, v7 offset:21312                           // 000000019714: D86C5340 45000007
	ds_read_b32 v70, v7 offset:21376                           // 00000001971C: D86C5380 46000007
	ds_read_b32 v71, v7 offset:21440                           // 000000019724: D86C53C0 47000007
	ds_read_b32 v72, v7 offset:21504                           // 00000001972C: D86C5400 48000007
	ds_read_b32 v73, v7 offset:21568                           // 000000019734: D86C5440 49000007
	ds_read_b32 v74, v7 offset:21632                           // 00000001973C: D86C5480 4A000007
	ds_read_b32 v75, v7 offset:21696                           // 000000019744: D86C54C0 4B000007
	ds_read_b32 v76, v7 offset:21760                           // 00000001974C: D86C5500 4C000007
	ds_read_b32 v77, v7 offset:21824                           // 000000019754: D86C5540 4D000007
	ds_read_b32 v78, v7 offset:21888                           // 00000001975C: D86C5580 4E000007
	ds_read_b32 v79, v7 offset:21952                           // 000000019764: D86C55C0 4F000007
	v_mul_f32_e32 v39, v50, v39                                // 00000001976C: 0A4E4F32
	v_mov_b32_e32 v15, v128                                    // 000000019770: 7E1E0380
	v_add_f32_e32 v15, v129, v15                               // 000000019774: 021E1F81
	v_add_f32_e32 v15, v130, v15                               // 000000019778: 021E1F82
	v_add_f32_e32 v15, v131, v15                               // 00000001977C: 021E1F83
	v_add_f32_e32 v15, v132, v15                               // 000000019780: 021E1F84
	v_add_f32_e32 v15, v133, v15                               // 000000019784: 021E1F85
	v_add_f32_e32 v15, v134, v15                               // 000000019788: 021E1F86
	v_add_f32_e32 v15, v135, v15                               // 00000001978C: 021E1F87
	v_add_f32_e32 v15, v136, v15                               // 000000019790: 021E1F88
	v_add_f32_e32 v15, v137, v15                               // 000000019794: 021E1F89
	v_add_f32_e32 v15, v138, v15                               // 000000019798: 021E1F8A
	v_add_f32_e32 v15, v139, v15                               // 00000001979C: 021E1F8B
	v_add_f32_e32 v15, v140, v15                               // 0000000197A0: 021E1F8C
	v_add_f32_e32 v15, v141, v15                               // 0000000197A4: 021E1F8D
	v_add_f32_e32 v15, v142, v15                               // 0000000197A8: 021E1F8E
	v_add_f32_e32 v15, v143, v15                               // 0000000197AC: 021E1F8F
	v_add_f32_e32 v39, v15, v39                                // 0000000197B0: 024E4F0F
	s_waitcnt lgkmcnt(0)                                       // 0000000197B4: BF8CC07F
	v_max3_f32 v48, |v64|, |v65|, v48                          // 0000000197B8: D1D30330 04C28340
	v_max3_f32 v48, |v66|, |v67|, v48                          // 0000000197C0: D1D30330 04C28742
	v_max3_f32 v48, |v68|, |v69|, v48                          // 0000000197C8: D1D30330 04C28B44
	v_max3_f32 v48, |v70|, |v71|, v48                          // 0000000197D0: D1D30330 04C28F46
	v_max3_f32 v48, |v72|, |v73|, v48                          // 0000000197D8: D1D30330 04C29348
	v_max3_f32 v48, |v74|, |v75|, v48                          // 0000000197E0: D1D30330 04C2974A
	v_max3_f32 v48, |v76|, |v77|, v48                          // 0000000197E8: D1D30330 04C29B4C
	v_max3_f32 v48, |v78|, |v79|, v48                          // 0000000197F0: D1D30330 04C29F4E
	s_nop 2                                                    // 0000000197F8: BF800002
	v_rcp_f32_e32 v48, v48                                     // 0000000197FC: 7E604530
	s_nop 1                                                    // 000000019800: BF800001
	v_mul_f32_e32 v48, 0x42fe0000, v48                         // 000000019804: 0A6060FF 42FE0000
	v_mul_f32_e32 v128, v48, v240                              // 00000001980C: 0B01E130
	v_mul_f32_e32 v129, v48, v241                              // 000000019810: 0B03E330
	v_mul_f32_e32 v130, v48, v242                              // 000000019814: 0B05E530
	v_mul_f32_e32 v131, v48, v243                              // 000000019818: 0B07E730
	v_mul_f32_e32 v132, v48, v244                              // 00000001981C: 0B09E930
	v_mul_f32_e32 v133, v48, v245                              // 000000019820: 0B0BEB30
	v_mul_f32_e32 v134, v48, v246                              // 000000019824: 0B0DED30
	v_mul_f32_e32 v135, v48, v247                              // 000000019828: 0B0FEF30
	v_mul_f32_e32 v136, v48, v248                              // 00000001982C: 0B11F130
	v_mul_f32_e32 v137, v48, v249                              // 000000019830: 0B13F330
	v_mul_f32_e32 v138, v48, v250                              // 000000019834: 0B15F530
	v_mul_f32_e32 v139, v48, v251                              // 000000019838: 0B17F730
	v_mul_f32_e32 v140, v48, v252                              // 00000001983C: 0B19F930
	v_mul_f32_e32 v141, v48, v253                              // 000000019840: 0B1BFB30
	v_mul_f32_e32 v142, v48, v254                              // 000000019844: 0B1DFD30
	v_mul_f32_e32 v143, v48, v255                              // 000000019848: 0B1FFF30
	v_cvt_i32_f32_e32 v128, v128                               // 00000001984C: 7F001180
	v_cvt_i32_f32_e32 v129, v129                               // 000000019850: 7F021181
	v_cvt_i32_f32_e32 v130, v130                               // 000000019854: 7F041182
	v_cvt_i32_f32_e32 v131, v131                               // 000000019858: 7F061183
	v_cvt_i32_f32_e32 v132, v132                               // 00000001985C: 7F081184
	v_cvt_i32_f32_e32 v133, v133                               // 000000019860: 7F0A1185
	v_cvt_i32_f32_e32 v134, v134                               // 000000019864: 7F0C1186
	v_cvt_i32_f32_e32 v135, v135                               // 000000019868: 7F0E1187
	v_cvt_i32_f32_e32 v136, v136                               // 00000001986C: 7F101188
	v_cvt_i32_f32_e32 v137, v137                               // 000000019870: 7F121189
	v_cvt_i32_f32_e32 v138, v138                               // 000000019874: 7F14118A
	v_cvt_i32_f32_e32 v139, v139                               // 000000019878: 7F16118B
	v_cvt_i32_f32_e32 v140, v140                               // 00000001987C: 7F18118C
	v_cvt_i32_f32_e32 v141, v141                               // 000000019880: 7F1A118D
	v_cvt_i32_f32_e32 v142, v142                               // 000000019884: 7F1C118E
	v_cvt_i32_f32_e32 v143, v143                               // 000000019888: 7F1E118F
	v_perm_b32 v128, v129, v128, s53                           // 00000001988C: D1ED0080 00D70181
	v_perm_b32 v128, v130, v128, s54                           // 000000019894: D1ED0080 00DB0182
	v_perm_b32 v128, v131, v128, s55                           // 00000001989C: D1ED0080 00DF0183
	v_perm_b32 v129, v133, v132, s53                           // 0000000198A4: D1ED0081 00D70985
	v_perm_b32 v129, v134, v129, s54                           // 0000000198AC: D1ED0081 00DB0386
	v_perm_b32 v129, v135, v129, s55                           // 0000000198B4: D1ED0081 00DF0387
	v_perm_b32 v130, v137, v136, s53                           // 0000000198BC: D1ED0082 00D71189
	v_perm_b32 v130, v138, v130, s54                           // 0000000198C4: D1ED0082 00DB058A
	v_perm_b32 v130, v139, v130, s55                           // 0000000198CC: D1ED0082 00DF058B
	v_perm_b32 v131, v141, v140, s53                           // 0000000198D4: D1ED0083 00D7198D
	v_perm_b32 v131, v142, v131, s54                           // 0000000198DC: D1ED0083 00DB078E
	v_perm_b32 v131, v143, v131, s55                           // 0000000198E4: D1ED0083 00DF078F
	ds_write_b32 v10, v128 offset:29184                        // 0000000198EC: D81A7200 0000800A
	ds_write_b32 v10, v129 offset:30208                        // 0000000198F4: D81A7600 0000810A
	ds_write_b32 v10, v130 offset:31232                        // 0000000198FC: D81A7A00 0000820A
	ds_write_b32 v10, v131 offset:32256                        // 000000019904: D81A7E00 0000830A
	v_add_f32_e32 v216, v216, v184                             // 00000001990C: 03B171D8
	v_add_f32_e32 v217, v217, v185                             // 000000019910: 03B373D9
	v_add_f32_e32 v218, v218, v186                             // 000000019914: 03B575DA
	v_add_f32_e32 v219, v219, v187                             // 000000019918: 03B777DB
	v_add_f32_e32 v220, v220, v188                             // 00000001991C: 03B979DC
	v_add_f32_e32 v221, v221, v189                             // 000000019920: 03BB7BDD
	v_add_f32_e32 v222, v222, v190                             // 000000019924: 03BD7DDE
	v_add_f32_e32 v223, v223, v191                             // 000000019928: 03BF7FDF
	v_rcp_f32_e32 v45, v48                                     // 00000001992C: 7E5A4530
	s_waitcnt lgkmcnt(0)                                       // 000000019930: BF8CC07F
	s_barrier                                                  // 000000019934: BF8A0000
	ds_read_b64 v[128:129], v9 offset:29184                    // 000000019938: D8EC7200 80000009
	ds_read_b64 v[130:131], v9 offset:29312                    // 000000019940: D8EC7280 82000009
	ds_read_b64 v[132:133], v9 offset:30208                    // 000000019948: D8EC7600 84000009
	ds_read_b64 v[134:135], v9 offset:30336                    // 000000019950: D8EC7680 86000009
	ds_read_b64 v[136:137], v9 offset:31232                    // 000000019958: D8EC7A00 88000009
	ds_read_b64 v[138:139], v9 offset:31360                    // 000000019960: D8EC7A80 8A000009
	ds_read_b64 v[140:141], v9 offset:32256                    // 000000019968: D8EC7E00 8C000009
	ds_read_b64 v[142:143], v9 offset:32384                    // 000000019970: D8EC7E80 8E000009
	v_mov_b32_dpp v64, v43 row_shr:4 row_mask:0xf bank_mask:0xf// 000000019978: 7E8002FA FF01142B
	v_mov_b32_dpp v65, v43 row_shl:4 row_mask:0xf bank_mask:0xf// 000000019980: 7E8202FA FF01042B
	v_cndmask_b32_e64 v248, v43, v64, s[44:45]                 // 000000019988: D10000F8 00B2812B
	v_cndmask_b32_e64 v249, v65, v43, s[44:45]                 // 000000019990: D10000F9 00B25741
	v_mov_b32_dpp v64, v248 row_shr:8 row_mask:0xf bank_mask:0xf// 000000019998: 7E8002FA FF0118F8
	v_mov_b32_dpp v65, v248 row_shl:8 row_mask:0xf bank_mask:0xf// 0000000199A0: 7E8202FA FF0108F8
	v_mov_b32_dpp v66, v249 row_shr:8 row_mask:0xf bank_mask:0xf// 0000000199A8: 7E8402FA FF0118F9
	v_mov_b32_dpp v67, v249 row_shl:8 row_mask:0xf bank_mask:0xf// 0000000199B0: 7E8602FA FF0108F9
	v_mov_b32_e32 v68, v248                                    // 0000000199B8: 7E8803F8
	v_mov_b32_e32 v69, v249                                    // 0000000199BC: 7E8A03F9
	v_cndmask_b32_e64 v248, v68, v64, s[42:43]                 // 0000000199C0: D10000F8 00AA8144
	v_cndmask_b32_e64 v250, v68, v65, s[78:79]                 // 0000000199C8: D10000FA 013A8344
	v_cndmask_b32_e64 v249, v69, v66, s[42:43]                 // 0000000199D0: D10000F9 00AA8545
	v_cndmask_b32_e64 v251, v69, v67, s[78:79]                 // 0000000199D8: D10000FB 013A8745
	v_mov_b32_dpp v64, v58 row_shr:4 row_mask:0xf bank_mask:0xf// 0000000199E0: 7E8002FA FF01143A
	v_mov_b32_dpp v65, v58 row_shl:4 row_mask:0xf bank_mask:0xf// 0000000199E8: 7E8202FA FF01043A
	v_cndmask_b32_e64 v252, v58, v64, s[44:45]                 // 0000000199F0: D10000FC 00B2813A
	v_cndmask_b32_e64 v253, v65, v58, s[44:45]                 // 0000000199F8: D10000FD 00B27541
	v_mov_b32_dpp v64, v252 row_shr:8 row_mask:0xf bank_mask:0xf// 000000019A00: 7E8002FA FF0118FC
	v_mov_b32_dpp v65, v252 row_shl:8 row_mask:0xf bank_mask:0xf// 000000019A08: 7E8202FA FF0108FC
	v_mov_b32_dpp v66, v253 row_shr:8 row_mask:0xf bank_mask:0xf// 000000019A10: 7E8402FA FF0118FD
	v_mov_b32_dpp v67, v253 row_shl:8 row_mask:0xf bank_mask:0xf// 000000019A18: 7E8602FA FF0108FD
	v_mov_b32_e32 v68, v252                                    // 000000019A20: 7E8803FC
	v_mov_b32_e32 v69, v253                                    // 000000019A24: 7E8A03FD
	v_cndmask_b32_e64 v252, v68, v64, s[42:43]                 // 000000019A28: D10000FC 00AA8144
	v_cndmask_b32_e64 v254, v68, v65, s[78:79]                 // 000000019A30: D10000FE 013A8344
	v_cndmask_b32_e64 v253, v69, v66, s[42:43]                 // 000000019A38: D10000FD 00AA8545
	v_cndmask_b32_e64 v255, v69, v67, s[78:79]                 // 000000019A40: D10000FF 013A8745
	v_cvt_f32_i32_e32 v144, v144                               // 000000019A48: 7F200B90
	v_cvt_f32_i32_e32 v145, v145                               // 000000019A4C: 7F220B91
	v_cvt_f32_i32_e32 v146, v146                               // 000000019A50: 7F240B92
	v_cvt_f32_i32_e32 v147, v147                               // 000000019A54: 7F260B93
	v_cvt_f32_i32_e32 v148, v148                               // 000000019A58: 7F280B94
	v_cvt_f32_i32_e32 v149, v149                               // 000000019A5C: 7F2A0B95
	v_cvt_f32_i32_e32 v150, v150                               // 000000019A60: 7F2C0B96
	v_cvt_f32_i32_e32 v151, v151                               // 000000019A64: 7F2E0B97
	v_cvt_f32_i32_e32 v152, v152                               // 000000019A68: 7F300B98
	v_cvt_f32_i32_e32 v153, v153                               // 000000019A6C: 7F320B99
	v_cvt_f32_i32_e32 v154, v154                               // 000000019A70: 7F340B9A
	v_cvt_f32_i32_e32 v155, v155                               // 000000019A74: 7F360B9B
	v_cvt_f32_i32_e32 v156, v156                               // 000000019A78: 7F380B9C
	v_cvt_f32_i32_e32 v157, v157                               // 000000019A7C: 7F3A0B9D
	v_cvt_f32_i32_e32 v158, v158                               // 000000019A80: 7F3C0B9E
	v_cvt_f32_i32_e32 v159, v159                               // 000000019A84: 7F3E0B9F
	v_mul_f32_e32 v144, v20, v144                              // 000000019A88: 0B212114
	v_mul_f32_e32 v145, v20, v145                              // 000000019A8C: 0B232314
	v_mul_f32_e32 v146, v20, v146                              // 000000019A90: 0B252514
	v_mul_f32_e32 v147, v20, v147                              // 000000019A94: 0B272714
	v_mul_f32_e32 v148, v20, v148                              // 000000019A98: 0B292914
	v_mul_f32_e32 v149, v20, v149                              // 000000019A9C: 0B2B2B14
	v_mul_f32_e32 v150, v20, v150                              // 000000019AA0: 0B2D2D14
	v_mul_f32_e32 v151, v20, v151                              // 000000019AA4: 0B2F2F14
	v_mul_f32_e32 v152, v20, v152                              // 000000019AA8: 0B313114
	v_mul_f32_e32 v153, v20, v153                              // 000000019AAC: 0B333314
	v_mul_f32_e32 v154, v20, v154                              // 000000019AB0: 0B353514
	v_mul_f32_e32 v155, v20, v155                              // 000000019AB4: 0B373714
	v_mul_f32_e32 v156, v20, v156                              // 000000019AB8: 0B393914
	v_mul_f32_e32 v157, v20, v157                              // 000000019ABC: 0B3B3B14
	v_mul_f32_e32 v158, v20, v158                              // 000000019AC0: 0B3D3D14
	v_mul_f32_e32 v159, v20, v159                              // 000000019AC4: 0B3F3F14
	v_mul_f32_dpp v144, v248, v144 quad_perm:[0,0,0,0] row_mask:0xf bank_mask:0xf// 000000019AC8: 0B2120FA FF0000F8
	v_mul_f32_dpp v145, v248, v145 quad_perm:[1,1,1,1] row_mask:0xf bank_mask:0xf// 000000019AD0: 0B2322FA FF0055F8
	v_mul_f32_dpp v146, v248, v146 quad_perm:[2,2,2,2] row_mask:0xf bank_mask:0xf// 000000019AD8: 0B2524FA FF00AAF8
	v_mul_f32_dpp v147, v248, v147 quad_perm:[3,3,3,3] row_mask:0xf bank_mask:0xf// 000000019AE0: 0B2726FA FF00FFF8
	v_mul_f32_dpp v148, v249, v148 quad_perm:[0,0,0,0] row_mask:0xf bank_mask:0xf// 000000019AE8: 0B2928FA FF0000F9
	v_mul_f32_dpp v149, v249, v149 quad_perm:[1,1,1,1] row_mask:0xf bank_mask:0xf// 000000019AF0: 0B2B2AFA FF0055F9
	v_mul_f32_dpp v150, v249, v150 quad_perm:[2,2,2,2] row_mask:0xf bank_mask:0xf// 000000019AF8: 0B2D2CFA FF00AAF9
	v_mul_f32_dpp v151, v249, v151 quad_perm:[3,3,3,3] row_mask:0xf bank_mask:0xf// 000000019B00: 0B2F2EFA FF00FFF9
	v_mul_f32_dpp v152, v250, v152 quad_perm:[0,0,0,0] row_mask:0xf bank_mask:0xf// 000000019B08: 0B3130FA FF0000FA
	v_mul_f32_dpp v153, v250, v153 quad_perm:[1,1,1,1] row_mask:0xf bank_mask:0xf// 000000019B10: 0B3332FA FF0055FA
	v_mul_f32_dpp v154, v250, v154 quad_perm:[2,2,2,2] row_mask:0xf bank_mask:0xf// 000000019B18: 0B3534FA FF00AAFA
	v_mul_f32_dpp v155, v250, v155 quad_perm:[3,3,3,3] row_mask:0xf bank_mask:0xf// 000000019B20: 0B3736FA FF00FFFA
	v_mul_f32_dpp v156, v251, v156 quad_perm:[0,0,0,0] row_mask:0xf bank_mask:0xf// 000000019B28: 0B3938FA FF0000FB
	v_mul_f32_dpp v157, v251, v157 quad_perm:[1,1,1,1] row_mask:0xf bank_mask:0xf// 000000019B30: 0B3B3AFA FF0055FB
	v_mul_f32_dpp v158, v251, v158 quad_perm:[2,2,2,2] row_mask:0xf bank_mask:0xf// 000000019B38: 0B3D3CFA FF00AAFB
	v_mul_f32_dpp v159, v251, v159 quad_perm:[3,3,3,3] row_mask:0xf bank_mask:0xf// 000000019B40: 0B3F3EFA FF00FFFB
	s_and_b32 s60, s72, 0xff                                   // 000000019B48: 863CFF48 000000FF
	v_mov_b32_e32 v65, s60                                     // 000000019B50: 7E82023C
	v_lshrrev_b32_e32 v240, 4, v0                              // 000000019B54: 21E00084
	v_mul_i32_i24_e32 v240, 4, v240                            // 000000019B58: 0DE1E084
	s_mul_i32 s60, s7, 16                                      // 000000019B5C: 923C9007
	v_add_u32_e32 v240, s60, v240                              // 000000019B60: 69E1E03C
	v_add_u32_e32 v241, 1, v240                                // 000000019B64: 69E3E081
	v_add_u32_e32 v242, 2, v240                                // 000000019B68: 69E5E082
	v_add_u32_e32 v243, 3, v240                                // 000000019B6C: 69E7E083
	v_mov_b32_e32 v64, 0xff800000                              // 000000019B70: 7E8002FF FF800000
	v_cmp_lt_u32_e64 s[40:41], v240, v65                       // 000000019B78: D0C90028 000283F0
	v_add_u32_e32 v240, 64, v240                               // 000000019B80: 69E1E0C0
	s_nop 0                                                    // 000000019B84: BF800000
	v_cndmask_b32_e64 v144, v64, v144, s[40:41]                // 000000019B88: D1000090 00A32140
	v_cmp_lt_u32_e64 s[40:41], v241, v65                       // 000000019B90: D0C90028 000283F1
	v_add_u32_e32 v241, 64, v241                               // 000000019B98: 69E3E2C0
	s_nop 0                                                    // 000000019B9C: BF800000
	v_cndmask_b32_e64 v145, v64, v145, s[40:41]                // 000000019BA0: D1000091 00A32340
	v_cmp_lt_u32_e64 s[40:41], v242, v65                       // 000000019BA8: D0C90028 000283F2
	v_add_u32_e32 v242, 64, v242                               // 000000019BB0: 69E5E4C0
	s_nop 0                                                    // 000000019BB4: BF800000
	v_cndmask_b32_e64 v146, v64, v146, s[40:41]                // 000000019BB8: D1000092 00A32540
	v_cmp_lt_u32_e64 s[40:41], v243, v65                       // 000000019BC0: D0C90028 000283F3
	v_add_u32_e32 v243, 64, v243                               // 000000019BC8: 69E7E6C0
	s_nop 0                                                    // 000000019BCC: BF800000
	v_cndmask_b32_e64 v147, v64, v147, s[40:41]                // 000000019BD0: D1000093 00A32740
	v_cmp_lt_u32_e64 s[40:41], v240, v65                       // 000000019BD8: D0C90028 000283F0
	v_add_u32_e32 v240, 64, v240                               // 000000019BE0: 69E1E0C0
	s_nop 0                                                    // 000000019BE4: BF800000
	v_cndmask_b32_e64 v148, v64, v148, s[40:41]                // 000000019BE8: D1000094 00A32940
	v_cmp_lt_u32_e64 s[40:41], v241, v65                       // 000000019BF0: D0C90028 000283F1
	v_add_u32_e32 v241, 64, v241                               // 000000019BF8: 69E3E2C0
	s_nop 0                                                    // 000000019BFC: BF800000
	v_cndmask_b32_e64 v149, v64, v149, s[40:41]                // 000000019C00: D1000095 00A32B40
	v_cmp_lt_u32_e64 s[40:41], v242, v65                       // 000000019C08: D0C90028 000283F2
	v_add_u32_e32 v242, 64, v242                               // 000000019C10: 69E5E4C0
	s_nop 0                                                    // 000000019C14: BF800000
	v_cndmask_b32_e64 v150, v64, v150, s[40:41]                // 000000019C18: D1000096 00A32D40
	v_cmp_lt_u32_e64 s[40:41], v243, v65                       // 000000019C20: D0C90028 000283F3
	v_add_u32_e32 v243, 64, v243                               // 000000019C28: 69E7E6C0
	s_nop 0                                                    // 000000019C2C: BF800000
	v_cndmask_b32_e64 v151, v64, v151, s[40:41]                // 000000019C30: D1000097 00A32F40
	v_cmp_lt_u32_e64 s[40:41], v240, v65                       // 000000019C38: D0C90028 000283F0
	v_add_u32_e32 v240, 64, v240                               // 000000019C40: 69E1E0C0
	s_nop 0                                                    // 000000019C44: BF800000
	v_cndmask_b32_e64 v152, v64, v152, s[40:41]                // 000000019C48: D1000098 00A33140
	v_cmp_lt_u32_e64 s[40:41], v241, v65                       // 000000019C50: D0C90028 000283F1
	v_add_u32_e32 v241, 64, v241                               // 000000019C58: 69E3E2C0
	s_nop 0                                                    // 000000019C5C: BF800000
	v_cndmask_b32_e64 v153, v64, v153, s[40:41]                // 000000019C60: D1000099 00A33340
	v_cmp_lt_u32_e64 s[40:41], v242, v65                       // 000000019C68: D0C90028 000283F2
	v_add_u32_e32 v242, 64, v242                               // 000000019C70: 69E5E4C0
	s_nop 0                                                    // 000000019C74: BF800000
	v_cndmask_b32_e64 v154, v64, v154, s[40:41]                // 000000019C78: D100009A 00A33540
	v_cmp_lt_u32_e64 s[40:41], v243, v65                       // 000000019C80: D0C90028 000283F3
	v_add_u32_e32 v243, 64, v243                               // 000000019C88: 69E7E6C0
	s_nop 0                                                    // 000000019C8C: BF800000
	v_cndmask_b32_e64 v155, v64, v155, s[40:41]                // 000000019C90: D100009B 00A33740
	v_cmp_lt_u32_e64 s[40:41], v240, v65                       // 000000019C98: D0C90028 000283F0
	v_add_u32_e32 v240, 64, v240                               // 000000019CA0: 69E1E0C0
	s_nop 0                                                    // 000000019CA4: BF800000
	v_cndmask_b32_e64 v156, v64, v156, s[40:41]                // 000000019CA8: D100009C 00A33940
	v_cmp_lt_u32_e64 s[40:41], v241, v65                       // 000000019CB0: D0C90028 000283F1
	v_add_u32_e32 v241, 64, v241                               // 000000019CB8: 69E3E2C0
	s_nop 0                                                    // 000000019CBC: BF800000
	v_cndmask_b32_e64 v157, v64, v157, s[40:41]                // 000000019CC0: D100009D 00A33B40
	v_cmp_lt_u32_e64 s[40:41], v242, v65                       // 000000019CC8: D0C90028 000283F2
	v_add_u32_e32 v242, 64, v242                               // 000000019CD0: 69E5E4C0
	s_nop 0                                                    // 000000019CD4: BF800000
	v_cndmask_b32_e64 v158, v64, v158, s[40:41]                // 000000019CD8: D100009E 00A33D40
	v_cmp_lt_u32_e64 s[40:41], v243, v65                       // 000000019CE0: D0C90028 000283F3
	v_add_u32_e32 v243, 64, v243                               // 000000019CE8: 69E7E6C0
	s_nop 0                                                    // 000000019CEC: BF800000
	v_cndmask_b32_e64 v159, v64, v159, s[40:41]                // 000000019CF0: D100009F 00A33F40
	v_mov_b32_e32 v48, v144                                    // 000000019CF8: 7E600390
	v_max3_f32 v48, v144, v145, v48                            // 000000019CFC: D1D30030 04C32390
	v_max3_f32 v48, v146, v147, v48                            // 000000019D04: D1D30030 04C32792
	v_max3_f32 v48, v148, v149, v48                            // 000000019D0C: D1D30030 04C32B94
	v_max3_f32 v48, v150, v151, v48                            // 000000019D14: D1D30030 04C32F96
	v_max3_f32 v48, v152, v153, v48                            // 000000019D1C: D1D30030 04C33398
	v_max3_f32 v48, v154, v155, v48                            // 000000019D24: D1D30030 04C3379A
	v_max3_f32 v48, v156, v157, v48                            // 000000019D2C: D1D30030 04C33B9C
	v_max3_f32 v48, v158, v159, v48                            // 000000019D34: D1D30030 04C33F9E
	ds_write_b32 v8, v48 offset:16896                          // 000000019D3C: D81A4200 00003008
	v_mul_f32_e32 v224, v51, v224                              // 000000019D44: 0BC1C133
	v_mul_f32_e32 v225, v51, v225                              // 000000019D48: 0BC3C333
	v_mul_f32_e32 v226, v51, v226                              // 000000019D4C: 0BC5C533
	v_mul_f32_e32 v227, v51, v227                              // 000000019D50: 0BC7C733
	v_mul_f32_e32 v228, v51, v228                              // 000000019D54: 0BC9C933
	v_mul_f32_e32 v229, v51, v229                              // 000000019D58: 0BCBCB33
	v_mul_f32_e32 v230, v51, v230                              // 000000019D5C: 0BCDCD33
	v_mul_f32_e32 v231, v51, v231                              // 000000019D60: 0BCFCF33
	s_waitcnt lgkmcnt(0)                                       // 000000019D64: BF8CC07F
	s_barrier                                                  // 000000019D68: BF8A0000
	ds_read_b32 v64, v7 offset:16896                           // 000000019D6C: D86C4200 40000007
	ds_read_b32 v65, v7 offset:16960                           // 000000019D74: D86C4240 41000007
	ds_read_b32 v66, v7 offset:17024                           // 000000019D7C: D86C4280 42000007
	ds_read_b32 v67, v7 offset:17088                           // 000000019D84: D86C42C0 43000007
	ds_read_b32 v68, v7 offset:17152                           // 000000019D8C: D86C4300 44000007
	ds_read_b32 v69, v7 offset:17216                           // 000000019D94: D86C4340 45000007
	ds_read_b32 v70, v7 offset:17280                           // 000000019D9C: D86C4380 46000007
	ds_read_b32 v71, v7 offset:17344                           // 000000019DA4: D86C43C0 47000007
	ds_read_b32 v72, v7 offset:17408                           // 000000019DAC: D86C4400 48000007
	ds_read_b32 v73, v7 offset:17472                           // 000000019DB4: D86C4440 49000007
	ds_read_b32 v74, v7 offset:17536                           // 000000019DBC: D86C4480 4A000007
	ds_read_b32 v75, v7 offset:17600                           // 000000019DC4: D86C44C0 4B000007
	ds_read_b32 v76, v7 offset:17664                           // 000000019DCC: D86C4500 4C000007
	ds_read_b32 v77, v7 offset:17728                           // 000000019DD4: D86C4540 4D000007
	ds_read_b32 v78, v7 offset:17792                           // 000000019DDC: D86C4580 4E000007
	ds_read_b32 v79, v7 offset:17856                           // 000000019DE4: D86C45C0 4F000007
	v_cvt_f32_i32_e32 v192, v192                               // 000000019DEC: 7F800BC0
	v_cvt_f32_i32_e32 v193, v193                               // 000000019DF0: 7F820BC1
	v_cvt_f32_i32_e32 v194, v194                               // 000000019DF4: 7F840BC2
	v_cvt_f32_i32_e32 v195, v195                               // 000000019DF8: 7F860BC3
	v_cvt_f32_i32_e32 v196, v196                               // 000000019DFC: 7F880BC4
	v_cvt_f32_i32_e32 v197, v197                               // 000000019E00: 7F8A0BC5
	v_cvt_f32_i32_e32 v198, v198                               // 000000019E04: 7F8C0BC6
	v_cvt_f32_i32_e32 v199, v199                               // 000000019E08: 7F8E0BC7
	v_mul_f32_e32 v192, v46, v192                              // 000000019E0C: 0B81812E
	v_mul_f32_e32 v193, v46, v193                              // 000000019E10: 0B83832E
	v_mul_f32_e32 v194, v46, v194                              // 000000019E14: 0B85852E
	v_mul_f32_e32 v195, v46, v195                              // 000000019E18: 0B87872E
	v_mul_f32_e32 v196, v46, v196                              // 000000019E1C: 0B89892E
	v_mul_f32_e32 v197, v46, v197                              // 000000019E20: 0B8B8B2E
	v_mul_f32_e32 v198, v46, v198                              // 000000019E24: 0B8D8D2E
	v_mul_f32_e32 v199, v46, v199                              // 000000019E28: 0B8F8F2E
	s_waitcnt lgkmcnt(0)                                       // 000000019E2C: BF8CC07F
	v_max3_f32 v48, v64, v65, v48                              // 000000019E30: D1D30030 04C28340
	v_max3_f32 v48, v66, v67, v48                              // 000000019E38: D1D30030 04C28742
	v_max3_f32 v48, v68, v69, v48                              // 000000019E40: D1D30030 04C28B44
	v_max3_f32 v48, v70, v71, v48                              // 000000019E48: D1D30030 04C28F46
	v_max3_f32 v48, v72, v73, v48                              // 000000019E50: D1D30030 04C29348
	v_max3_f32 v48, v74, v75, v48                              // 000000019E58: D1D30030 04C2974A
	v_max3_f32 v48, v76, v77, v48                              // 000000019E60: D1D30030 04C29B4C
	v_max3_f32 v48, v78, v79, v48                              // 000000019E68: D1D30030 04C29F4E
	v_mov_b32_e32 v64, 0xff800000                              // 000000019E70: 7E8002FF FF800000
	v_cmp_eq_u32_e64 s[40:41], v64, v13                        // 000000019E78: D0CA0028 00021B40
	s_nop 1                                                    // 000000019E80: BF800001
	v_max_f32_e32 v15, v48, v13                                // 000000019E84: 161E1B30
	v_mul_f32_e32 v53, s64, v15                                // 000000019E88: 0A6A1E40
	v_fma_f32 v144, v144, s64, -v53                            // 000000019E8C: D1CB0090 84D48190
	v_fma_f32 v145, v145, s64, -v53                            // 000000019E94: D1CB0091 84D48191
	v_fma_f32 v146, v146, s64, -v53                            // 000000019E9C: D1CB0092 84D48192
	v_fma_f32 v147, v147, s64, -v53                            // 000000019EA4: D1CB0093 84D48193
	v_fma_f32 v148, v148, s64, -v53                            // 000000019EAC: D1CB0094 84D48194
	v_fma_f32 v149, v149, s64, -v53                            // 000000019EB4: D1CB0095 84D48195
	v_fma_f32 v150, v150, s64, -v53                            // 000000019EBC: D1CB0096 84D48196
	v_fma_f32 v151, v151, s64, -v53                            // 000000019EC4: D1CB0097 84D48197
	v_fma_f32 v152, v152, s64, -v53                            // 000000019ECC: D1CB0098 84D48198
	v_fma_f32 v153, v153, s64, -v53                            // 000000019ED4: D1CB0099 84D48199
	v_fma_f32 v154, v154, s64, -v53                            // 000000019EDC: D1CB009A 84D4819A
	v_fma_f32 v155, v155, s64, -v53                            // 000000019EE4: D1CB009B 84D4819B
	v_fma_f32 v156, v156, s64, -v53                            // 000000019EEC: D1CB009C 84D4819C
	v_fma_f32 v157, v157, s64, -v53                            // 000000019EF4: D1CB009D 84D4819D
	v_fma_f32 v158, v158, s64, -v53                            // 000000019EFC: D1CB009E 84D4819E
	v_fma_f32 v159, v159, s64, -v53                            // 000000019F04: D1CB009F 84D4819F
	v_exp_f32_e32 v144, v144                                   // 000000019F0C: 7F204190
	v_exp_f32_e32 v145, v145                                   // 000000019F10: 7F224191
	v_exp_f32_e32 v146, v146                                   // 000000019F14: 7F244192
	v_exp_f32_e32 v147, v147                                   // 000000019F18: 7F264193
	v_exp_f32_e32 v148, v148                                   // 000000019F1C: 7F284194
	v_exp_f32_e32 v149, v149                                   // 000000019F20: 7F2A4195
	v_exp_f32_e32 v150, v150                                   // 000000019F24: 7F2C4196
	v_exp_f32_e32 v151, v151                                   // 000000019F28: 7F2E4197
	v_exp_f32_e32 v152, v152                                   // 000000019F2C: 7F304198
	v_exp_f32_e32 v153, v153                                   // 000000019F30: 7F324199
	v_exp_f32_e32 v154, v154                                   // 000000019F34: 7F34419A
	v_exp_f32_e32 v155, v155                                   // 000000019F38: 7F36419B
	v_exp_f32_e32 v156, v156                                   // 000000019F3C: 7F38419C
	v_exp_f32_e32 v157, v157                                   // 000000019F40: 7F3A419D
	v_exp_f32_e32 v158, v158                                   // 000000019F44: 7F3C419E
	v_exp_f32_e32 v159, v159                                   // 000000019F48: 7F3E419F
	v_mul_f32_dpp v240, v252, v144 quad_perm:[0,0,0,0] row_mask:0xf bank_mask:0xf// 000000019F4C: 0BE120FA FF0000FC
	v_mul_f32_dpp v241, v252, v145 quad_perm:[1,1,1,1] row_mask:0xf bank_mask:0xf// 000000019F54: 0BE322FA FF0055FC
	v_mul_f32_dpp v242, v252, v146 quad_perm:[2,2,2,2] row_mask:0xf bank_mask:0xf// 000000019F5C: 0BE524FA FF00AAFC
	v_mul_f32_dpp v243, v252, v147 quad_perm:[3,3,3,3] row_mask:0xf bank_mask:0xf// 000000019F64: 0BE726FA FF00FFFC
	v_mul_f32_dpp v244, v253, v148 quad_perm:[0,0,0,0] row_mask:0xf bank_mask:0xf// 000000019F6C: 0BE928FA FF0000FD
	v_mul_f32_dpp v245, v253, v149 quad_perm:[1,1,1,1] row_mask:0xf bank_mask:0xf// 000000019F74: 0BEB2AFA FF0055FD
	v_mul_f32_dpp v246, v253, v150 quad_perm:[2,2,2,2] row_mask:0xf bank_mask:0xf// 000000019F7C: 0BED2CFA FF00AAFD
	v_mul_f32_dpp v247, v253, v151 quad_perm:[3,3,3,3] row_mask:0xf bank_mask:0xf// 000000019F84: 0BEF2EFA FF00FFFD
	v_mul_f32_dpp v248, v254, v152 quad_perm:[0,0,0,0] row_mask:0xf bank_mask:0xf// 000000019F8C: 0BF130FA FF0000FE
	v_mul_f32_dpp v249, v254, v153 quad_perm:[1,1,1,1] row_mask:0xf bank_mask:0xf// 000000019F94: 0BF332FA FF0055FE
	v_mul_f32_dpp v250, v254, v154 quad_perm:[2,2,2,2] row_mask:0xf bank_mask:0xf// 000000019F9C: 0BF534FA FF00AAFE
	v_mul_f32_dpp v251, v254, v155 quad_perm:[3,3,3,3] row_mask:0xf bank_mask:0xf// 000000019FA4: 0BF736FA FF00FFFE
	v_mul_f32_dpp v252, v255, v156 quad_perm:[0,0,0,0] row_mask:0xf bank_mask:0xf// 000000019FAC: 0BF938FA FF0000FF
	v_mul_f32_dpp v253, v255, v157 quad_perm:[1,1,1,1] row_mask:0xf bank_mask:0xf// 000000019FB4: 0BFB3AFA FF0055FF
	v_mul_f32_dpp v254, v255, v158 quad_perm:[2,2,2,2] row_mask:0xf bank_mask:0xf// 000000019FBC: 0BFD3CFA FF00AAFF
	v_mul_f32_dpp v255, v255, v159 quad_perm:[3,3,3,3] row_mask:0xf bank_mask:0xf// 000000019FC4: 0BFF3EFA FF00FFFF
	v_mov_b32_e32 v48, 0x358637bd                              // 000000019FCC: 7E6002FF 358637BD
	v_max3_f32 v48, |v240|, |v241|, v48                        // 000000019FD4: D1D30330 04C3E3F0
	v_max3_f32 v48, |v242|, |v243|, v48                        // 000000019FDC: D1D30330 04C3E7F2
	v_max3_f32 v48, |v244|, |v245|, v48                        // 000000019FE4: D1D30330 04C3EBF4
	v_max3_f32 v48, |v246|, |v247|, v48                        // 000000019FEC: D1D30330 04C3EFF6
	v_max3_f32 v48, |v248|, |v249|, v48                        // 000000019FF4: D1D30330 04C3F3F8
	v_max3_f32 v48, |v250|, |v251|, v48                        // 000000019FFC: D1D30330 04C3F7FA
	v_max3_f32 v48, |v252|, |v253|, v48                        // 00000001A004: D1D30330 04C3FBFC
	v_max3_f32 v48, |v254|, |v255|, v48                        // 00000001A00C: D1D30330 04C3FFFE
	ds_write_b32 v8, v48 offset:20992                          // 00000001A014: D81A5200 00003008
	v_sub_f32_e32 v51, v13, v15                                // 00000001A01C: 04661F0D
	v_cndmask_b32_e64 v51, v51, 0, s[40:41]                    // 00000001A020: D1000033 00A10133
	v_mov_b32_e32 v13, v15                                     // 00000001A028: 7E1A030F
	v_mul_f32_e32 v51, s64, v51                                // 00000001A02C: 0A666640
	v_exp_f32_e32 v51, v51                                     // 00000001A030: 7E664133
	s_waitcnt lgkmcnt(0)                                       // 00000001A034: BF8CC07F
	s_barrier                                                  // 00000001A038: BF8A0000
	ds_read_b32 v64, v7 offset:20992                           // 00000001A03C: D86C5200 40000007
	ds_read_b32 v65, v7 offset:21056                           // 00000001A044: D86C5240 41000007
	ds_read_b32 v66, v7 offset:21120                           // 00000001A04C: D86C5280 42000007
	ds_read_b32 v67, v7 offset:21184                           // 00000001A054: D86C52C0 43000007
	ds_read_b32 v68, v7 offset:21248                           // 00000001A05C: D86C5300 44000007
	ds_read_b32 v69, v7 offset:21312                           // 00000001A064: D86C5340 45000007
	ds_read_b32 v70, v7 offset:21376                           // 00000001A06C: D86C5380 46000007
	ds_read_b32 v71, v7 offset:21440                           // 00000001A074: D86C53C0 47000007
	ds_read_b32 v72, v7 offset:21504                           // 00000001A07C: D86C5400 48000007
	ds_read_b32 v73, v7 offset:21568                           // 00000001A084: D86C5440 49000007
	ds_read_b32 v74, v7 offset:21632                           // 00000001A08C: D86C5480 4A000007
	ds_read_b32 v75, v7 offset:21696                           // 00000001A094: D86C54C0 4B000007
	ds_read_b32 v76, v7 offset:21760                           // 00000001A09C: D86C5500 4C000007
	ds_read_b32 v77, v7 offset:21824                           // 00000001A0A4: D86C5540 4D000007
	ds_read_b32 v78, v7 offset:21888                           // 00000001A0AC: D86C5580 4E000007
	ds_read_b32 v79, v7 offset:21952                           // 00000001A0B4: D86C55C0 4F000007
	v_mul_f32_e32 v40, v51, v40                                // 00000001A0BC: 0A505133
	v_mov_b32_e32 v15, v144                                    // 00000001A0C0: 7E1E0390
	v_add_f32_e32 v15, v145, v15                               // 00000001A0C4: 021E1F91
	v_add_f32_e32 v15, v146, v15                               // 00000001A0C8: 021E1F92
	v_add_f32_e32 v15, v147, v15                               // 00000001A0CC: 021E1F93
	v_add_f32_e32 v15, v148, v15                               // 00000001A0D0: 021E1F94
	v_add_f32_e32 v15, v149, v15                               // 00000001A0D4: 021E1F95
	v_add_f32_e32 v15, v150, v15                               // 00000001A0D8: 021E1F96
	v_add_f32_e32 v15, v151, v15                               // 00000001A0DC: 021E1F97
	v_add_f32_e32 v15, v152, v15                               // 00000001A0E0: 021E1F98
	v_add_f32_e32 v15, v153, v15                               // 00000001A0E4: 021E1F99
	v_add_f32_e32 v15, v154, v15                               // 00000001A0E8: 021E1F9A
	v_add_f32_e32 v15, v155, v15                               // 00000001A0EC: 021E1F9B
	v_add_f32_e32 v15, v156, v15                               // 00000001A0F0: 021E1F9C
	v_add_f32_e32 v15, v157, v15                               // 00000001A0F4: 021E1F9D
	v_add_f32_e32 v15, v158, v15                               // 00000001A0F8: 021E1F9E
	v_add_f32_e32 v15, v159, v15                               // 00000001A0FC: 021E1F9F
	v_add_f32_e32 v40, v15, v40                                // 00000001A100: 0250510F
	s_waitcnt lgkmcnt(0)                                       // 00000001A104: BF8CC07F
	v_max3_f32 v48, |v64|, |v65|, v48                          // 00000001A108: D1D30330 04C28340
	v_max3_f32 v48, |v66|, |v67|, v48                          // 00000001A110: D1D30330 04C28742
	v_max3_f32 v48, |v68|, |v69|, v48                          // 00000001A118: D1D30330 04C28B44
	v_max3_f32 v48, |v70|, |v71|, v48                          // 00000001A120: D1D30330 04C28F46
	v_max3_f32 v48, |v72|, |v73|, v48                          // 00000001A128: D1D30330 04C29348
	v_max3_f32 v48, |v74|, |v75|, v48                          // 00000001A130: D1D30330 04C2974A
	v_max3_f32 v48, |v76|, |v77|, v48                          // 00000001A138: D1D30330 04C29B4C
	v_max3_f32 v48, |v78|, |v79|, v48                          // 00000001A140: D1D30330 04C29F4E
	s_nop 2                                                    // 00000001A148: BF800002
	v_rcp_f32_e32 v48, v48                                     // 00000001A14C: 7E604530
	s_nop 1                                                    // 00000001A150: BF800001
	v_mul_f32_e32 v48, 0x42fe0000, v48                         // 00000001A154: 0A6060FF 42FE0000
	v_mul_f32_e32 v144, v48, v240                              // 00000001A15C: 0B21E130
	v_mul_f32_e32 v145, v48, v241                              // 00000001A160: 0B23E330
	v_mul_f32_e32 v146, v48, v242                              // 00000001A164: 0B25E530
	v_mul_f32_e32 v147, v48, v243                              // 00000001A168: 0B27E730
	v_mul_f32_e32 v148, v48, v244                              // 00000001A16C: 0B29E930
	v_mul_f32_e32 v149, v48, v245                              // 00000001A170: 0B2BEB30
	v_mul_f32_e32 v150, v48, v246                              // 00000001A174: 0B2DED30
	v_mul_f32_e32 v151, v48, v247                              // 00000001A178: 0B2FEF30
	v_mul_f32_e32 v152, v48, v248                              // 00000001A17C: 0B31F130
	v_mul_f32_e32 v153, v48, v249                              // 00000001A180: 0B33F330
	v_mul_f32_e32 v154, v48, v250                              // 00000001A184: 0B35F530
	v_mul_f32_e32 v155, v48, v251                              // 00000001A188: 0B37F730
	v_mul_f32_e32 v156, v48, v252                              // 00000001A18C: 0B39F930
	v_mul_f32_e32 v157, v48, v253                              // 00000001A190: 0B3BFB30
	v_mul_f32_e32 v158, v48, v254                              // 00000001A194: 0B3DFD30
	v_mul_f32_e32 v159, v48, v255                              // 00000001A198: 0B3FFF30
	v_cvt_i32_f32_e32 v144, v144                               // 00000001A19C: 7F201190
	v_cvt_i32_f32_e32 v145, v145                               // 00000001A1A0: 7F221191
	v_cvt_i32_f32_e32 v146, v146                               // 00000001A1A4: 7F241192
	v_cvt_i32_f32_e32 v147, v147                               // 00000001A1A8: 7F261193
	v_cvt_i32_f32_e32 v148, v148                               // 00000001A1AC: 7F281194
	v_cvt_i32_f32_e32 v149, v149                               // 00000001A1B0: 7F2A1195
	v_cvt_i32_f32_e32 v150, v150                               // 00000001A1B4: 7F2C1196
	v_cvt_i32_f32_e32 v151, v151                               // 00000001A1B8: 7F2E1197
	v_cvt_i32_f32_e32 v152, v152                               // 00000001A1BC: 7F301198
	v_cvt_i32_f32_e32 v153, v153                               // 00000001A1C0: 7F321199
	v_cvt_i32_f32_e32 v154, v154                               // 00000001A1C4: 7F34119A
	v_cvt_i32_f32_e32 v155, v155                               // 00000001A1C8: 7F36119B
	v_cvt_i32_f32_e32 v156, v156                               // 00000001A1CC: 7F38119C
	v_cvt_i32_f32_e32 v157, v157                               // 00000001A1D0: 7F3A119D
	v_cvt_i32_f32_e32 v158, v158                               // 00000001A1D4: 7F3C119E
	v_cvt_i32_f32_e32 v159, v159                               // 00000001A1D8: 7F3E119F
	v_perm_b32 v144, v145, v144, s53                           // 00000001A1DC: D1ED0090 00D72191
	v_perm_b32 v144, v146, v144, s54                           // 00000001A1E4: D1ED0090 00DB2192
	v_perm_b32 v144, v147, v144, s55                           // 00000001A1EC: D1ED0090 00DF2193
	v_perm_b32 v145, v149, v148, s53                           // 00000001A1F4: D1ED0091 00D72995
	v_perm_b32 v145, v150, v145, s54                           // 00000001A1FC: D1ED0091 00DB2396
	v_perm_b32 v145, v151, v145, s55                           // 00000001A204: D1ED0091 00DF2397
	v_perm_b32 v146, v153, v152, s53                           // 00000001A20C: D1ED0092 00D73199
	v_perm_b32 v146, v154, v146, s54                           // 00000001A214: D1ED0092 00DB259A
	v_perm_b32 v146, v155, v146, s55                           // 00000001A21C: D1ED0092 00DF259B
	v_perm_b32 v147, v157, v156, s53                           // 00000001A224: D1ED0093 00D7399D
	v_perm_b32 v147, v158, v147, s54                           // 00000001A22C: D1ED0093 00DB279E
	v_perm_b32 v147, v159, v147, s55                           // 00000001A234: D1ED0093 00DF279F
	ds_write_b32 v10, v144 offset:33280                        // 00000001A23C: D81A8200 0000900A
	ds_write_b32 v10, v145 offset:34304                        // 00000001A244: D81A8600 0000910A
	ds_write_b32 v10, v146 offset:35328                        // 00000001A24C: D81A8A00 0000920A
	ds_write_b32 v10, v147 offset:36352                        // 00000001A254: D81A8E00 0000930A
	v_add_f32_e32 v224, v224, v192                             // 00000001A25C: 03C181E0
	v_add_f32_e32 v225, v225, v193                             // 00000001A260: 03C383E1
	v_add_f32_e32 v226, v226, v194                             // 00000001A264: 03C585E2
	v_add_f32_e32 v227, v227, v195                             // 00000001A268: 03C787E3
	v_add_f32_e32 v228, v228, v196                             // 00000001A26C: 03C989E4
	v_add_f32_e32 v229, v229, v197                             // 00000001A270: 03CB8BE5
	v_add_f32_e32 v230, v230, v198                             // 00000001A274: 03CD8DE6
	v_add_f32_e32 v231, v231, v199                             // 00000001A278: 03CF8FE7
	v_rcp_f32_e32 v46, v48                                     // 00000001A27C: 7E5C4530
	s_waitcnt lgkmcnt(0)                                       // 00000001A280: BF8CC07F
	s_barrier                                                  // 00000001A284: BF8A0000
	ds_read_b64 v[144:145], v9 offset:33280                    // 00000001A288: D8EC8200 90000009
	ds_read_b64 v[146:147], v9 offset:33408                    // 00000001A290: D8EC8280 92000009
	ds_read_b64 v[148:149], v9 offset:34304                    // 00000001A298: D8EC8600 94000009
	ds_read_b64 v[150:151], v9 offset:34432                    // 00000001A2A0: D8EC8680 96000009
	ds_read_b64 v[152:153], v9 offset:35328                    // 00000001A2A8: D8EC8A00 98000009
	ds_read_b64 v[154:155], v9 offset:35456                    // 00000001A2B0: D8EC8A80 9A000009
	ds_read_b64 v[156:157], v9 offset:36352                    // 00000001A2B8: D8EC8E00 9C000009
	ds_read_b64 v[158:159], v9 offset:36480                    // 00000001A2C0: D8EC8E80 9E000009
	s_waitcnt vmcnt(0)                                         // 00000001A2C8: BF8C0F70
	s_barrier                                                  // 00000001A2CC: BF8A0000
	v_mfma_i32_16x16x32_i8 v[176:179], a[96:97], v[112:113], 0 // 00000001A2D0: D3D700B0 0A02E160
	v_mfma_i32_16x16x32_i8 v[176:179], a[98:99], v[114:115], v[176:179]// 00000001A2D8: D3D700B0 0EC2E562
	v_mfma_i32_16x16x32_i8 v[176:179], a[100:101], v[116:117], v[176:179]// 00000001A2E0: D3D700B0 0EC2E964
	v_mfma_i32_16x16x32_i8 v[176:179], a[102:103], v[118:119], v[176:179]// 00000001A2E8: D3D700B0 0EC2ED66
	v_mfma_i32_16x16x32_i8 v[176:179], a[104:105], v[120:121], v[176:179]// 00000001A2F0: D3D700B0 0EC2F168
	v_mfma_i32_16x16x32_i8 v[176:179], a[106:107], v[122:123], v[176:179]// 00000001A2F8: D3D700B0 0EC2F56A
	v_mfma_i32_16x16x32_i8 v[176:179], a[108:109], v[124:125], v[176:179]// 00000001A300: D3D700B0 0EC2F96C
	v_mfma_i32_16x16x32_i8 v[176:179], a[110:111], v[126:127], v[176:179]// 00000001A308: D3D700B0 0EC2FD6E
	v_mfma_i32_16x16x32_i8 v[180:183], a[112:113], v[112:113], 0// 00000001A310: D3D700B4 0A02E170
	v_mfma_i32_16x16x32_i8 v[180:183], a[114:115], v[114:115], v[180:183]// 00000001A318: D3D700B4 0ED2E572
	v_mfma_i32_16x16x32_i8 v[180:183], a[116:117], v[116:117], v[180:183]// 00000001A320: D3D700B4 0ED2E974
	v_mfma_i32_16x16x32_i8 v[180:183], a[118:119], v[118:119], v[180:183]// 00000001A328: D3D700B4 0ED2ED76
	v_mfma_i32_16x16x32_i8 v[180:183], a[120:121], v[120:121], v[180:183]// 00000001A330: D3D700B4 0ED2F178
	v_mfma_i32_16x16x32_i8 v[180:183], a[122:123], v[122:123], v[180:183]// 00000001A338: D3D700B4 0ED2F57A
	v_mfma_i32_16x16x32_i8 v[180:183], a[124:125], v[124:125], v[180:183]// 00000001A340: D3D700B4 0ED2F97C
	v_mfma_i32_16x16x32_i8 v[180:183], a[126:127], v[126:127], v[180:183]// 00000001A348: D3D700B4 0ED2FD7E
	v_mfma_i32_16x16x32_i8 v[184:187], a[96:97], v[128:129], 0 // 00000001A350: D3D700B8 0A030160
	v_mfma_i32_16x16x32_i8 v[184:187], a[98:99], v[130:131], v[184:187]// 00000001A358: D3D700B8 0EE30562
	v_mfma_i32_16x16x32_i8 v[184:187], a[100:101], v[132:133], v[184:187]// 00000001A360: D3D700B8 0EE30964
	v_mfma_i32_16x16x32_i8 v[184:187], a[102:103], v[134:135], v[184:187]// 00000001A368: D3D700B8 0EE30D66
	v_mfma_i32_16x16x32_i8 v[184:187], a[104:105], v[136:137], v[184:187]// 00000001A370: D3D700B8 0EE31168
	v_mfma_i32_16x16x32_i8 v[184:187], a[106:107], v[138:139], v[184:187]// 00000001A378: D3D700B8 0EE3156A
	v_mfma_i32_16x16x32_i8 v[184:187], a[108:109], v[140:141], v[184:187]// 00000001A380: D3D700B8 0EE3196C
	v_mfma_i32_16x16x32_i8 v[184:187], a[110:111], v[142:143], v[184:187]// 00000001A388: D3D700B8 0EE31D6E
	v_mfma_i32_16x16x32_i8 v[188:191], a[112:113], v[128:129], 0// 00000001A390: D3D700BC 0A030170
	v_mfma_i32_16x16x32_i8 v[188:191], a[114:115], v[130:131], v[188:191]// 00000001A398: D3D700BC 0EF30572
	v_mfma_i32_16x16x32_i8 v[188:191], a[116:117], v[132:133], v[188:191]// 00000001A3A0: D3D700BC 0EF30974
	v_mfma_i32_16x16x32_i8 v[188:191], a[118:119], v[134:135], v[188:191]// 00000001A3A8: D3D700BC 0EF30D76
	v_mfma_i32_16x16x32_i8 v[188:191], a[120:121], v[136:137], v[188:191]// 00000001A3B0: D3D700BC 0EF31178
	v_mfma_i32_16x16x32_i8 v[188:191], a[122:123], v[138:139], v[188:191]// 00000001A3B8: D3D700BC 0EF3157A
	v_mfma_i32_16x16x32_i8 v[188:191], a[124:125], v[140:141], v[188:191]// 00000001A3C0: D3D700BC 0EF3197C
	v_mfma_i32_16x16x32_i8 v[188:191], a[126:127], v[142:143], v[188:191]// 00000001A3C8: D3D700BC 0EF31D7E
	v_mfma_i32_16x16x32_i8 v[192:195], a[96:97], v[144:145], 0 // 00000001A3D0: D3D700C0 0A032160
	v_mfma_i32_16x16x32_i8 v[192:195], a[98:99], v[146:147], v[192:195]// 00000001A3D8: D3D700C0 0F032562
	v_mfma_i32_16x16x32_i8 v[192:195], a[100:101], v[148:149], v[192:195]// 00000001A3E0: D3D700C0 0F032964
	v_mfma_i32_16x16x32_i8 v[192:195], a[102:103], v[150:151], v[192:195]// 00000001A3E8: D3D700C0 0F032D66
	v_mfma_i32_16x16x32_i8 v[192:195], a[104:105], v[152:153], v[192:195]// 00000001A3F0: D3D700C0 0F033168
	v_mfma_i32_16x16x32_i8 v[192:195], a[106:107], v[154:155], v[192:195]// 00000001A3F8: D3D700C0 0F03356A
	v_mfma_i32_16x16x32_i8 v[192:195], a[108:109], v[156:157], v[192:195]// 00000001A400: D3D700C0 0F03396C
	v_mfma_i32_16x16x32_i8 v[192:195], a[110:111], v[158:159], v[192:195]// 00000001A408: D3D700C0 0F033D6E
	v_mfma_i32_16x16x32_i8 v[196:199], a[112:113], v[144:145], 0// 00000001A410: D3D700C4 0A032170
	v_mfma_i32_16x16x32_i8 v[196:199], a[114:115], v[146:147], v[196:199]// 00000001A418: D3D700C4 0F132572
	v_mfma_i32_16x16x32_i8 v[196:199], a[116:117], v[148:149], v[196:199]// 00000001A420: D3D700C4 0F132974
	v_mfma_i32_16x16x32_i8 v[196:199], a[118:119], v[150:151], v[196:199]// 00000001A428: D3D700C4 0F132D76
	v_mfma_i32_16x16x32_i8 v[196:199], a[120:121], v[152:153], v[196:199]// 00000001A430: D3D700C4 0F133178
	v_mfma_i32_16x16x32_i8 v[196:199], a[122:123], v[154:155], v[196:199]// 00000001A438: D3D700C4 0F13357A
	v_mfma_i32_16x16x32_i8 v[196:199], a[124:125], v[156:157], v[196:199]// 00000001A440: D3D700C4 0F13397C
	v_mfma_i32_16x16x32_i8 v[196:199], a[126:127], v[158:159], v[196:199]// 00000001A448: D3D700C4 0F133D7E
	s_nop 4                                                    // 00000001A450: BF800004
	s_branch label_6096                                        // 00000001A454: BF820000

000000000001a458 <label_6096>:
	v_mul_f32_e32 v208, v49, v208                              // 00000001A458: 0BA1A131
	v_mul_f32_e32 v209, v49, v209                              // 00000001A45C: 0BA3A331
	v_mul_f32_e32 v210, v49, v210                              // 00000001A460: 0BA5A531
	v_mul_f32_e32 v211, v49, v211                              // 00000001A464: 0BA7A731
	v_mul_f32_e32 v212, v49, v212                              // 00000001A468: 0BA9A931
	v_mul_f32_e32 v213, v49, v213                              // 00000001A46C: 0BABAB31
	v_mul_f32_e32 v214, v49, v214                              // 00000001A470: 0BADAD31
	v_mul_f32_e32 v215, v49, v215                              // 00000001A474: 0BAFAF31
	v_cvt_f32_i32_e32 v176, v176                               // 00000001A478: 7F600BB0
	v_cvt_f32_i32_e32 v177, v177                               // 00000001A47C: 7F620BB1
	v_cvt_f32_i32_e32 v178, v178                               // 00000001A480: 7F640BB2
	v_cvt_f32_i32_e32 v179, v179                               // 00000001A484: 7F660BB3
	v_cvt_f32_i32_e32 v180, v180                               // 00000001A488: 7F680BB4
	v_cvt_f32_i32_e32 v181, v181                               // 00000001A48C: 7F6A0BB5
	v_cvt_f32_i32_e32 v182, v182                               // 00000001A490: 7F6C0BB6
	v_cvt_f32_i32_e32 v183, v183                               // 00000001A494: 7F6E0BB7
	v_mul_f32_e32 v176, v44, v176                              // 00000001A498: 0B61612C
	v_mul_f32_e32 v177, v44, v177                              // 00000001A49C: 0B63632C
	v_mul_f32_e32 v178, v44, v178                              // 00000001A4A0: 0B65652C
	v_mul_f32_e32 v179, v44, v179                              // 00000001A4A4: 0B67672C
	v_mul_f32_e32 v180, v44, v180                              // 00000001A4A8: 0B69692C
	v_mul_f32_e32 v181, v44, v181                              // 00000001A4AC: 0B6B6B2C
	v_mul_f32_e32 v182, v44, v182                              // 00000001A4B0: 0B6D6D2C
	v_mul_f32_e32 v183, v44, v183                              // 00000001A4B4: 0B6F6F2C
	v_add_f32_e32 v208, v208, v176                             // 00000001A4B8: 03A161D0
	v_add_f32_e32 v209, v209, v177                             // 00000001A4BC: 03A363D1
	v_add_f32_e32 v210, v210, v178                             // 00000001A4C0: 03A565D2
	v_add_f32_e32 v211, v211, v179                             // 00000001A4C4: 03A767D3
	v_add_f32_e32 v212, v212, v180                             // 00000001A4C8: 03A969D4
	v_add_f32_e32 v213, v213, v181                             // 00000001A4CC: 03AB6BD5
	v_add_f32_e32 v214, v214, v182                             // 00000001A4D0: 03AD6DD6
	v_add_f32_e32 v215, v215, v183                             // 00000001A4D4: 03AF6FD7
	ds_write_b32 v8, v38 offset:16896                          // 00000001A4D8: D81A4200 00002608
	s_waitcnt lgkmcnt(0)                                       // 00000001A4E0: BF8CC07F
	s_barrier                                                  // 00000001A4E4: BF8A0000
	ds_read_b32 v64, v7 offset:16896                           // 00000001A4E8: D86C4200 40000007
	ds_read_b32 v65, v7 offset:16960                           // 00000001A4F0: D86C4240 41000007
	ds_read_b32 v66, v7 offset:17024                           // 00000001A4F8: D86C4280 42000007
	ds_read_b32 v67, v7 offset:17088                           // 00000001A500: D86C42C0 43000007
	ds_read_b32 v68, v7 offset:17152                           // 00000001A508: D86C4300 44000007
	ds_read_b32 v69, v7 offset:17216                           // 00000001A510: D86C4340 45000007
	ds_read_b32 v70, v7 offset:17280                           // 00000001A518: D86C4380 46000007
	ds_read_b32 v71, v7 offset:17344                           // 00000001A520: D86C43C0 47000007
	ds_read_b32 v72, v7 offset:17408                           // 00000001A528: D86C4400 48000007
	ds_read_b32 v73, v7 offset:17472                           // 00000001A530: D86C4440 49000007
	ds_read_b32 v74, v7 offset:17536                           // 00000001A538: D86C4480 4A000007
	ds_read_b32 v75, v7 offset:17600                           // 00000001A540: D86C44C0 4B000007
	ds_read_b32 v76, v7 offset:17664                           // 00000001A548: D86C4500 4C000007
	ds_read_b32 v77, v7 offset:17728                           // 00000001A550: D86C4540 4D000007
	ds_read_b32 v78, v7 offset:17792                           // 00000001A558: D86C4580 4E000007
	ds_read_b32 v79, v7 offset:17856                           // 00000001A560: D86C45C0 4F000007
	s_waitcnt lgkmcnt(0)                                       // 00000001A568: BF8CC07F
	v_mov_b32_e32 v38, 0                                       // 00000001A56C: 7E4C0280
	v_add_f32_e32 v38, v64, v38                                // 00000001A570: 024C4D40
	v_add_f32_e32 v38, v65, v38                                // 00000001A574: 024C4D41
	v_add_f32_e32 v38, v66, v38                                // 00000001A578: 024C4D42
	v_add_f32_e32 v38, v67, v38                                // 00000001A57C: 024C4D43
	v_add_f32_e32 v38, v68, v38                                // 00000001A580: 024C4D44
	v_add_f32_e32 v38, v69, v38                                // 00000001A584: 024C4D45
	v_add_f32_e32 v38, v70, v38                                // 00000001A588: 024C4D46
	v_add_f32_e32 v38, v71, v38                                // 00000001A58C: 024C4D47
	v_add_f32_e32 v38, v72, v38                                // 00000001A590: 024C4D48
	v_add_f32_e32 v38, v73, v38                                // 00000001A594: 024C4D49
	v_add_f32_e32 v38, v74, v38                                // 00000001A598: 024C4D4A
	v_add_f32_e32 v38, v75, v38                                // 00000001A59C: 024C4D4B
	v_add_f32_e32 v38, v76, v38                                // 00000001A5A0: 024C4D4C
	v_add_f32_e32 v38, v77, v38                                // 00000001A5A4: 024C4D4D
	v_add_f32_e32 v38, v78, v38                                // 00000001A5A8: 024C4D4E
	v_add_f32_e32 v38, v79, v38                                // 00000001A5AC: 024C4D4F
	s_nop 1                                                    // 00000001A5B0: BF800001
	v_rcp_f32_e32 v38, v38                                     // 00000001A5B4: 7E4C4526
	s_nop 1                                                    // 00000001A5B8: BF800001
	v_mul_f32_e32 v208, v38, v208                              // 00000001A5BC: 0BA1A126
	v_mul_f32_e32 v209, v38, v209                              // 00000001A5C0: 0BA3A326
	v_mul_f32_e32 v210, v38, v210                              // 00000001A5C4: 0BA5A526
	v_mul_f32_e32 v211, v38, v211                              // 00000001A5C8: 0BA7A726
	v_mul_f32_e32 v212, v38, v212                              // 00000001A5CC: 0BA9A926
	v_mul_f32_e32 v213, v38, v213                              // 00000001A5D0: 0BABAB26
	v_mul_f32_e32 v214, v38, v214                              // 00000001A5D4: 0BADAD26
	v_mul_f32_e32 v215, v38, v215                              // 00000001A5D8: 0BAFAF26
	v_mov_b32_e32 v19, 0xffff0000                              // 00000001A5DC: 7E2602FF FFFF0000
	v_mov_b32_e32 v20, 0x7fff0000                              // 00000001A5E4: 7E2802FF 7FFF0000
	v_mov_b32_e32 v21, 0x7fff                                  // 00000001A5EC: 7E2A02FF 00007FFF
	v_cmp_u_f32_e64 s[40:41], v208, v208                       // 00000001A5F4: D0480028 0003A1D0
	v_add3_u32 v18, v208, v21, 1                               // 00000001A5FC: D1FF0012 02062BD0
	v_cndmask_b32_e64 v64, v18, v20, s[40:41]                  // 00000001A604: D1000040 00A22912
	v_cmp_u_f32_e64 s[40:41], v209, v209                       // 00000001A60C: D0480028 0003A3D1
	v_add3_u32 v18, v209, v21, 1                               // 00000001A614: D1FF0012 02062BD1
	v_cndmask_b32_e64 v65, v18, v20, s[40:41]                  // 00000001A61C: D1000041 00A22912
	v_perm_b32 v208, v65, v64, s52                             // 00000001A624: D1ED00D0 00D28141
	v_cmp_u_f32_e64 s[40:41], v210, v210                       // 00000001A62C: D0480028 0003A5D2
	v_add3_u32 v18, v210, v21, 1                               // 00000001A634: D1FF0012 02062BD2
	v_cndmask_b32_e64 v64, v18, v20, s[40:41]                  // 00000001A63C: D1000040 00A22912
	v_cmp_u_f32_e64 s[40:41], v211, v211                       // 00000001A644: D0480028 0003A7D3
	v_add3_u32 v18, v211, v21, 1                               // 00000001A64C: D1FF0012 02062BD3
	v_cndmask_b32_e64 v65, v18, v20, s[40:41]                  // 00000001A654: D1000041 00A22912
	v_perm_b32 v209, v65, v64, s52                             // 00000001A65C: D1ED00D1 00D28141
	v_cmp_u_f32_e64 s[40:41], v212, v212                       // 00000001A664: D0480028 0003A9D4
	v_add3_u32 v18, v212, v21, 1                               // 00000001A66C: D1FF0012 02062BD4
	v_cndmask_b32_e64 v64, v18, v20, s[40:41]                  // 00000001A674: D1000040 00A22912
	v_cmp_u_f32_e64 s[40:41], v213, v213                       // 00000001A67C: D0480028 0003ABD5
	v_add3_u32 v18, v213, v21, 1                               // 00000001A684: D1FF0012 02062BD5
	v_cndmask_b32_e64 v65, v18, v20, s[40:41]                  // 00000001A68C: D1000041 00A22912
	v_perm_b32 v210, v65, v64, s52                             // 00000001A694: D1ED00D2 00D28141
	v_cmp_u_f32_e64 s[40:41], v214, v214                       // 00000001A69C: D0480028 0003ADD6
	v_add3_u32 v18, v214, v21, 1                               // 00000001A6A4: D1FF0012 02062BD6
	v_cndmask_b32_e64 v64, v18, v20, s[40:41]                  // 00000001A6AC: D1000040 00A22912
	v_cmp_u_f32_e64 s[40:41], v215, v215                       // 00000001A6B4: D0480028 0003AFD7
	v_add3_u32 v18, v215, v21, 1                               // 00000001A6BC: D1FF0012 02062BD7
	v_cndmask_b32_e64 v65, v18, v20, s[40:41]                  // 00000001A6C4: D1000041 00A22912
	v_perm_b32 v211, v65, v64, s52                             // 00000001A6CC: D1ED00D3 00D28141
	s_nop 1                                                    // 00000001A6D4: BF800001
	v_lshrrev_b32_e32 v64, 4, v0                               // 00000001A6D8: 20800084
	v_mul_i32_i24_e32 v68, 34, v64                             // 00000001A6DC: 0C8880A2
	v_and_b32_e32 v64, 15, v0                                  // 00000001A6E0: 2680008F
	v_mul_i32_i24_e32 v65, 2, v64                              // 00000001A6E4: 0C828082
	v_add_u32_e32 v68, v65, v68                                // 00000001A6E8: 68888941
	s_mul_i32 s60, s7, 0x88                                    // 00000001A6EC: 923CFF07 00000088
	v_add_u32_e32 v68, s60, v68                                // 00000001A6F4: 6888883C
	v_lshlrev_b32_e32 v68, 2, v68                              // 00000001A6F8: 24888882
	ds_write_b64 v68, v[208:209] offset:41472                  // 00000001A6FC: D89AA200 0000D044
	ds_write_b64 v68, v[210:211] offset:43648                  // 00000001A704: D89AAA80 0000D244
	v_lshrrev_b32_e32 v64, 1, v0                               // 00000001A70C: 20800081
	v_mul_i32_i24_e32 v68, 34, v64                             // 00000001A710: 0C8880A2
	v_and_b32_e32 v65, 1, v0                                   // 00000001A714: 26820081
	v_add_u32_e32 v68, v65, v68                                // 00000001A718: 68888941
	s_mul_i32 s60, s7, 2                                       // 00000001A71C: 923C8207
	v_add_u32_e32 v68, s60, v68                                // 00000001A720: 6888883C
	v_lshlrev_b32_e32 v68, 2, v68                              // 00000001A724: 24888882
	s_waitcnt lgkmcnt(0)                                       // 00000001A728: BF8CC07F
	s_barrier                                                  // 00000001A72C: BF8A0000
	ds_read_b32 v208, v68 offset:41472                         // 00000001A730: D86CA200 D0000044
	ds_read_b32 v209, v68 offset:41504                         // 00000001A738: D86CA220 D1000044
	ds_read_b32 v210, v68 offset:41536                         // 00000001A740: D86CA240 D2000044
	ds_read_b32 v211, v68 offset:41568                         // 00000001A748: D86CA260 D3000044
	s_mul_i32 s60, s7, 0x100                                   // 00000001A750: 923CFF07 00000100
	v_lshlrev_b32_e32 v64, 2, v0                               // 00000001A758: 24800082
	v_add_u32_e64 v64, v64, s60                                // 00000001A75C: D1340040 00007940
	s_waitcnt lgkmcnt(0)                                       // 00000001A764: BF8CC07F
	buffer_store_dword v208, v64, s[8:11], 0 offen             // 00000001A768: E0701000 8002D040
	buffer_store_dword v209, v64, s[8:11], 0 offen offset:1024 // 00000001A770: E0701400 8002D140
	buffer_store_dword v210, v64, s[8:11], 0 offen offset:2048 // 00000001A778: E0701800 8002D240
	buffer_store_dword v211, v64, s[8:11], 0 offen offset:3072 // 00000001A780: E0701C00 8002D340
	s_add_u32 s8, s75, s8                                      // 00000001A788: 8008084B
	s_addc_u32 s9, 0, s9                                       // 00000001A78C: 82090980
	v_mul_f32_e32 v216, v50, v216                              // 00000001A790: 0BB1B132
	v_mul_f32_e32 v217, v50, v217                              // 00000001A794: 0BB3B332
	v_mul_f32_e32 v218, v50, v218                              // 00000001A798: 0BB5B532
	v_mul_f32_e32 v219, v50, v219                              // 00000001A79C: 0BB7B732
	v_mul_f32_e32 v220, v50, v220                              // 00000001A7A0: 0BB9B932
	v_mul_f32_e32 v221, v50, v221                              // 00000001A7A4: 0BBBBB32
	v_mul_f32_e32 v222, v50, v222                              // 00000001A7A8: 0BBDBD32
	v_mul_f32_e32 v223, v50, v223                              // 00000001A7AC: 0BBFBF32
	v_cvt_f32_i32_e32 v184, v184                               // 00000001A7B0: 7F700BB8
	v_cvt_f32_i32_e32 v185, v185                               // 00000001A7B4: 7F720BB9
	v_cvt_f32_i32_e32 v186, v186                               // 00000001A7B8: 7F740BBA
	v_cvt_f32_i32_e32 v187, v187                               // 00000001A7BC: 7F760BBB
	v_cvt_f32_i32_e32 v188, v188                               // 00000001A7C0: 7F780BBC
	v_cvt_f32_i32_e32 v189, v189                               // 00000001A7C4: 7F7A0BBD
	v_cvt_f32_i32_e32 v190, v190                               // 00000001A7C8: 7F7C0BBE
	v_cvt_f32_i32_e32 v191, v191                               // 00000001A7CC: 7F7E0BBF
	v_mul_f32_e32 v184, v45, v184                              // 00000001A7D0: 0B71712D
	v_mul_f32_e32 v185, v45, v185                              // 00000001A7D4: 0B73732D
	v_mul_f32_e32 v186, v45, v186                              // 00000001A7D8: 0B75752D
	v_mul_f32_e32 v187, v45, v187                              // 00000001A7DC: 0B77772D
	v_mul_f32_e32 v188, v45, v188                              // 00000001A7E0: 0B79792D
	v_mul_f32_e32 v189, v45, v189                              // 00000001A7E4: 0B7B7B2D
	v_mul_f32_e32 v190, v45, v190                              // 00000001A7E8: 0B7D7D2D
	v_mul_f32_e32 v191, v45, v191                              // 00000001A7EC: 0B7F7F2D
	v_add_f32_e32 v216, v216, v184                             // 00000001A7F0: 03B171D8
	v_add_f32_e32 v217, v217, v185                             // 00000001A7F4: 03B373D9
	v_add_f32_e32 v218, v218, v186                             // 00000001A7F8: 03B575DA
	v_add_f32_e32 v219, v219, v187                             // 00000001A7FC: 03B777DB
	v_add_f32_e32 v220, v220, v188                             // 00000001A800: 03B979DC
	v_add_f32_e32 v221, v221, v189                             // 00000001A804: 03BB7BDD
	v_add_f32_e32 v222, v222, v190                             // 00000001A808: 03BD7DDE
	v_add_f32_e32 v223, v223, v191                             // 00000001A80C: 03BF7FDF
	ds_write_b32 v8, v39 offset:16896                          // 00000001A810: D81A4200 00002708
	s_waitcnt lgkmcnt(0)                                       // 00000001A818: BF8CC07F
	s_barrier                                                  // 00000001A81C: BF8A0000
	ds_read_b32 v64, v7 offset:16896                           // 00000001A820: D86C4200 40000007
	ds_read_b32 v65, v7 offset:16960                           // 00000001A828: D86C4240 41000007
	ds_read_b32 v66, v7 offset:17024                           // 00000001A830: D86C4280 42000007
	ds_read_b32 v67, v7 offset:17088                           // 00000001A838: D86C42C0 43000007
	ds_read_b32 v68, v7 offset:17152                           // 00000001A840: D86C4300 44000007
	ds_read_b32 v69, v7 offset:17216                           // 00000001A848: D86C4340 45000007
	ds_read_b32 v70, v7 offset:17280                           // 00000001A850: D86C4380 46000007
	ds_read_b32 v71, v7 offset:17344                           // 00000001A858: D86C43C0 47000007
	ds_read_b32 v72, v7 offset:17408                           // 00000001A860: D86C4400 48000007
	ds_read_b32 v73, v7 offset:17472                           // 00000001A868: D86C4440 49000007
	ds_read_b32 v74, v7 offset:17536                           // 00000001A870: D86C4480 4A000007
	ds_read_b32 v75, v7 offset:17600                           // 00000001A878: D86C44C0 4B000007
	ds_read_b32 v76, v7 offset:17664                           // 00000001A880: D86C4500 4C000007
	ds_read_b32 v77, v7 offset:17728                           // 00000001A888: D86C4540 4D000007
	ds_read_b32 v78, v7 offset:17792                           // 00000001A890: D86C4580 4E000007
	ds_read_b32 v79, v7 offset:17856                           // 00000001A898: D86C45C0 4F000007
	s_waitcnt lgkmcnt(0)                                       // 00000001A8A0: BF8CC07F
	v_mov_b32_e32 v39, 0                                       // 00000001A8A4: 7E4E0280
	v_add_f32_e32 v39, v64, v39                                // 00000001A8A8: 024E4F40
	v_add_f32_e32 v39, v65, v39                                // 00000001A8AC: 024E4F41
	v_add_f32_e32 v39, v66, v39                                // 00000001A8B0: 024E4F42
	v_add_f32_e32 v39, v67, v39                                // 00000001A8B4: 024E4F43
	v_add_f32_e32 v39, v68, v39                                // 00000001A8B8: 024E4F44
	v_add_f32_e32 v39, v69, v39                                // 00000001A8BC: 024E4F45
	v_add_f32_e32 v39, v70, v39                                // 00000001A8C0: 024E4F46
	v_add_f32_e32 v39, v71, v39                                // 00000001A8C4: 024E4F47
	v_add_f32_e32 v39, v72, v39                                // 00000001A8C8: 024E4F48
	v_add_f32_e32 v39, v73, v39                                // 00000001A8CC: 024E4F49
	v_add_f32_e32 v39, v74, v39                                // 00000001A8D0: 024E4F4A
	v_add_f32_e32 v39, v75, v39                                // 00000001A8D4: 024E4F4B
	v_add_f32_e32 v39, v76, v39                                // 00000001A8D8: 024E4F4C
	v_add_f32_e32 v39, v77, v39                                // 00000001A8DC: 024E4F4D
	v_add_f32_e32 v39, v78, v39                                // 00000001A8E0: 024E4F4E
	v_add_f32_e32 v39, v79, v39                                // 00000001A8E4: 024E4F4F
	s_nop 1                                                    // 00000001A8E8: BF800001
	v_rcp_f32_e32 v39, v39                                     // 00000001A8EC: 7E4E4527
	s_nop 1                                                    // 00000001A8F0: BF800001
	v_mul_f32_e32 v216, v39, v216                              // 00000001A8F4: 0BB1B127
	v_mul_f32_e32 v217, v39, v217                              // 00000001A8F8: 0BB3B327
	v_mul_f32_e32 v218, v39, v218                              // 00000001A8FC: 0BB5B527
	v_mul_f32_e32 v219, v39, v219                              // 00000001A900: 0BB7B727
	v_mul_f32_e32 v220, v39, v220                              // 00000001A904: 0BB9B927
	v_mul_f32_e32 v221, v39, v221                              // 00000001A908: 0BBBBB27
	v_mul_f32_e32 v222, v39, v222                              // 00000001A90C: 0BBDBD27
	v_mul_f32_e32 v223, v39, v223                              // 00000001A910: 0BBFBF27
	v_mov_b32_e32 v19, 0xffff0000                              // 00000001A914: 7E2602FF FFFF0000
	v_mov_b32_e32 v20, 0x7fff0000                              // 00000001A91C: 7E2802FF 7FFF0000
	v_mov_b32_e32 v21, 0x7fff                                  // 00000001A924: 7E2A02FF 00007FFF
	v_cmp_u_f32_e64 s[40:41], v216, v216                       // 00000001A92C: D0480028 0003B1D8
	v_add3_u32 v18, v216, v21, 1                               // 00000001A934: D1FF0012 02062BD8
	v_cndmask_b32_e64 v64, v18, v20, s[40:41]                  // 00000001A93C: D1000040 00A22912
	v_cmp_u_f32_e64 s[40:41], v217, v217                       // 00000001A944: D0480028 0003B3D9
	v_add3_u32 v18, v217, v21, 1                               // 00000001A94C: D1FF0012 02062BD9
	v_cndmask_b32_e64 v65, v18, v20, s[40:41]                  // 00000001A954: D1000041 00A22912
	v_perm_b32 v216, v65, v64, s52                             // 00000001A95C: D1ED00D8 00D28141
	v_cmp_u_f32_e64 s[40:41], v218, v218                       // 00000001A964: D0480028 0003B5DA
	v_add3_u32 v18, v218, v21, 1                               // 00000001A96C: D1FF0012 02062BDA
	v_cndmask_b32_e64 v64, v18, v20, s[40:41]                  // 00000001A974: D1000040 00A22912
	v_cmp_u_f32_e64 s[40:41], v219, v219                       // 00000001A97C: D0480028 0003B7DB
	v_add3_u32 v18, v219, v21, 1                               // 00000001A984: D1FF0012 02062BDB
	v_cndmask_b32_e64 v65, v18, v20, s[40:41]                  // 00000001A98C: D1000041 00A22912
	v_perm_b32 v217, v65, v64, s52                             // 00000001A994: D1ED00D9 00D28141
	v_cmp_u_f32_e64 s[40:41], v220, v220                       // 00000001A99C: D0480028 0003B9DC
	v_add3_u32 v18, v220, v21, 1                               // 00000001A9A4: D1FF0012 02062BDC
	v_cndmask_b32_e64 v64, v18, v20, s[40:41]                  // 00000001A9AC: D1000040 00A22912
	v_cmp_u_f32_e64 s[40:41], v221, v221                       // 00000001A9B4: D0480028 0003BBDD
	v_add3_u32 v18, v221, v21, 1                               // 00000001A9BC: D1FF0012 02062BDD
	v_cndmask_b32_e64 v65, v18, v20, s[40:41]                  // 00000001A9C4: D1000041 00A22912
	v_perm_b32 v218, v65, v64, s52                             // 00000001A9CC: D1ED00DA 00D28141
	v_cmp_u_f32_e64 s[40:41], v222, v222                       // 00000001A9D4: D0480028 0003BDDE
	v_add3_u32 v18, v222, v21, 1                               // 00000001A9DC: D1FF0012 02062BDE
	v_cndmask_b32_e64 v64, v18, v20, s[40:41]                  // 00000001A9E4: D1000040 00A22912
	v_cmp_u_f32_e64 s[40:41], v223, v223                       // 00000001A9EC: D0480028 0003BFDF
	v_add3_u32 v18, v223, v21, 1                               // 00000001A9F4: D1FF0012 02062BDF
	v_cndmask_b32_e64 v65, v18, v20, s[40:41]                  // 00000001A9FC: D1000041 00A22912
	v_perm_b32 v219, v65, v64, s52                             // 00000001AA04: D1ED00DB 00D28141
	s_nop 1                                                    // 00000001AA0C: BF800001
	v_lshrrev_b32_e32 v64, 4, v0                               // 00000001AA10: 20800084
	v_mul_i32_i24_e32 v68, 34, v64                             // 00000001AA14: 0C8880A2
	v_and_b32_e32 v64, 15, v0                                  // 00000001AA18: 2680008F
	v_mul_i32_i24_e32 v65, 2, v64                              // 00000001AA1C: 0C828082
	v_add_u32_e32 v68, v65, v68                                // 00000001AA20: 68888941
	s_mul_i32 s60, s7, 0x88                                    // 00000001AA24: 923CFF07 00000088
	v_add_u32_e32 v68, s60, v68                                // 00000001AA2C: 6888883C
	v_lshlrev_b32_e32 v68, 2, v68                              // 00000001AA30: 24888882
	ds_write_b64 v68, v[216:217] offset:41472                  // 00000001AA34: D89AA200 0000D844
	ds_write_b64 v68, v[218:219] offset:43648                  // 00000001AA3C: D89AAA80 0000DA44
	v_lshrrev_b32_e32 v64, 1, v0                               // 00000001AA44: 20800081
	v_mul_i32_i24_e32 v68, 34, v64                             // 00000001AA48: 0C8880A2
	v_and_b32_e32 v65, 1, v0                                   // 00000001AA4C: 26820081
	v_add_u32_e32 v68, v65, v68                                // 00000001AA50: 68888941
	s_mul_i32 s60, s7, 2                                       // 00000001AA54: 923C8207
	v_add_u32_e32 v68, s60, v68                                // 00000001AA58: 6888883C
	v_lshlrev_b32_e32 v68, 2, v68                              // 00000001AA5C: 24888882
	s_waitcnt lgkmcnt(0)                                       // 00000001AA60: BF8CC07F
	s_barrier                                                  // 00000001AA64: BF8A0000
	ds_read_b32 v216, v68 offset:41472                         // 00000001AA68: D86CA200 D8000044
	ds_read_b32 v217, v68 offset:41504                         // 00000001AA70: D86CA220 D9000044
	ds_read_b32 v218, v68 offset:41536                         // 00000001AA78: D86CA240 DA000044
	ds_read_b32 v219, v68 offset:41568                         // 00000001AA80: D86CA260 DB000044
	s_mul_i32 s60, s7, 0x100                                   // 00000001AA88: 923CFF07 00000100
	v_lshlrev_b32_e32 v64, 2, v0                               // 00000001AA90: 24800082
	v_add_u32_e64 v64, v64, s60                                // 00000001AA94: D1340040 00007940
	s_waitcnt lgkmcnt(0)                                       // 00000001AA9C: BF8CC07F
	buffer_store_dword v216, v64, s[8:11], 0 offen             // 00000001AAA0: E0701000 8002D840
	buffer_store_dword v217, v64, s[8:11], 0 offen offset:1024 // 00000001AAA8: E0701400 8002D940
	buffer_store_dword v218, v64, s[8:11], 0 offen offset:2048 // 00000001AAB0: E0701800 8002DA40
	buffer_store_dword v219, v64, s[8:11], 0 offen offset:3072 // 00000001AAB8: E0701C00 8002DB40
	s_add_u32 s8, s75, s8                                      // 00000001AAC0: 8008084B
	s_addc_u32 s9, 0, s9                                       // 00000001AAC4: 82090980
	v_mul_f32_e32 v224, v51, v224                              // 00000001AAC8: 0BC1C133
	v_mul_f32_e32 v225, v51, v225                              // 00000001AACC: 0BC3C333
	v_mul_f32_e32 v226, v51, v226                              // 00000001AAD0: 0BC5C533
	v_mul_f32_e32 v227, v51, v227                              // 00000001AAD4: 0BC7C733
	v_mul_f32_e32 v228, v51, v228                              // 00000001AAD8: 0BC9C933
	v_mul_f32_e32 v229, v51, v229                              // 00000001AADC: 0BCBCB33
	v_mul_f32_e32 v230, v51, v230                              // 00000001AAE0: 0BCDCD33
	v_mul_f32_e32 v231, v51, v231                              // 00000001AAE4: 0BCFCF33
	v_cvt_f32_i32_e32 v192, v192                               // 00000001AAE8: 7F800BC0
	v_cvt_f32_i32_e32 v193, v193                               // 00000001AAEC: 7F820BC1
	v_cvt_f32_i32_e32 v194, v194                               // 00000001AAF0: 7F840BC2
	v_cvt_f32_i32_e32 v195, v195                               // 00000001AAF4: 7F860BC3
	v_cvt_f32_i32_e32 v196, v196                               // 00000001AAF8: 7F880BC4
	v_cvt_f32_i32_e32 v197, v197                               // 00000001AAFC: 7F8A0BC5
	v_cvt_f32_i32_e32 v198, v198                               // 00000001AB00: 7F8C0BC6
	v_cvt_f32_i32_e32 v199, v199                               // 00000001AB04: 7F8E0BC7
	v_mul_f32_e32 v192, v46, v192                              // 00000001AB08: 0B81812E
	v_mul_f32_e32 v193, v46, v193                              // 00000001AB0C: 0B83832E
	v_mul_f32_e32 v194, v46, v194                              // 00000001AB10: 0B85852E
	v_mul_f32_e32 v195, v46, v195                              // 00000001AB14: 0B87872E
	v_mul_f32_e32 v196, v46, v196                              // 00000001AB18: 0B89892E
	v_mul_f32_e32 v197, v46, v197                              // 00000001AB1C: 0B8B8B2E
	v_mul_f32_e32 v198, v46, v198                              // 00000001AB20: 0B8D8D2E
	v_mul_f32_e32 v199, v46, v199                              // 00000001AB24: 0B8F8F2E
	v_add_f32_e32 v224, v224, v192                             // 00000001AB28: 03C181E0
	v_add_f32_e32 v225, v225, v193                             // 00000001AB2C: 03C383E1
	v_add_f32_e32 v226, v226, v194                             // 00000001AB30: 03C585E2
	v_add_f32_e32 v227, v227, v195                             // 00000001AB34: 03C787E3
	v_add_f32_e32 v228, v228, v196                             // 00000001AB38: 03C989E4
	v_add_f32_e32 v229, v229, v197                             // 00000001AB3C: 03CB8BE5
	v_add_f32_e32 v230, v230, v198                             // 00000001AB40: 03CD8DE6
	v_add_f32_e32 v231, v231, v199                             // 00000001AB44: 03CF8FE7
	ds_write_b32 v8, v40 offset:16896                          // 00000001AB48: D81A4200 00002808
	s_waitcnt lgkmcnt(0)                                       // 00000001AB50: BF8CC07F
	s_barrier                                                  // 00000001AB54: BF8A0000
	ds_read_b32 v64, v7 offset:16896                           // 00000001AB58: D86C4200 40000007
	ds_read_b32 v65, v7 offset:16960                           // 00000001AB60: D86C4240 41000007
	ds_read_b32 v66, v7 offset:17024                           // 00000001AB68: D86C4280 42000007
	ds_read_b32 v67, v7 offset:17088                           // 00000001AB70: D86C42C0 43000007
	ds_read_b32 v68, v7 offset:17152                           // 00000001AB78: D86C4300 44000007
	ds_read_b32 v69, v7 offset:17216                           // 00000001AB80: D86C4340 45000007
	ds_read_b32 v70, v7 offset:17280                           // 00000001AB88: D86C4380 46000007
	ds_read_b32 v71, v7 offset:17344                           // 00000001AB90: D86C43C0 47000007
	ds_read_b32 v72, v7 offset:17408                           // 00000001AB98: D86C4400 48000007
	ds_read_b32 v73, v7 offset:17472                           // 00000001ABA0: D86C4440 49000007
	ds_read_b32 v74, v7 offset:17536                           // 00000001ABA8: D86C4480 4A000007
	ds_read_b32 v75, v7 offset:17600                           // 00000001ABB0: D86C44C0 4B000007
	ds_read_b32 v76, v7 offset:17664                           // 00000001ABB8: D86C4500 4C000007
	ds_read_b32 v77, v7 offset:17728                           // 00000001ABC0: D86C4540 4D000007
	ds_read_b32 v78, v7 offset:17792                           // 00000001ABC8: D86C4580 4E000007
	ds_read_b32 v79, v7 offset:17856                           // 00000001ABD0: D86C45C0 4F000007
	s_waitcnt lgkmcnt(0)                                       // 00000001ABD8: BF8CC07F
	v_mov_b32_e32 v40, 0                                       // 00000001ABDC: 7E500280
	v_add_f32_e32 v40, v64, v40                                // 00000001ABE0: 02505140
	v_add_f32_e32 v40, v65, v40                                // 00000001ABE4: 02505141
	v_add_f32_e32 v40, v66, v40                                // 00000001ABE8: 02505142
	v_add_f32_e32 v40, v67, v40                                // 00000001ABEC: 02505143
	v_add_f32_e32 v40, v68, v40                                // 00000001ABF0: 02505144
	v_add_f32_e32 v40, v69, v40                                // 00000001ABF4: 02505145
	v_add_f32_e32 v40, v70, v40                                // 00000001ABF8: 02505146
	v_add_f32_e32 v40, v71, v40                                // 00000001ABFC: 02505147
	v_add_f32_e32 v40, v72, v40                                // 00000001AC00: 02505148
	v_add_f32_e32 v40, v73, v40                                // 00000001AC04: 02505149
	v_add_f32_e32 v40, v74, v40                                // 00000001AC08: 0250514A
	v_add_f32_e32 v40, v75, v40                                // 00000001AC0C: 0250514B
	v_add_f32_e32 v40, v76, v40                                // 00000001AC10: 0250514C
	v_add_f32_e32 v40, v77, v40                                // 00000001AC14: 0250514D
	v_add_f32_e32 v40, v78, v40                                // 00000001AC18: 0250514E
	v_add_f32_e32 v40, v79, v40                                // 00000001AC1C: 0250514F
	s_nop 1                                                    // 00000001AC20: BF800001
	v_rcp_f32_e32 v40, v40                                     // 00000001AC24: 7E504528
	s_nop 1                                                    // 00000001AC28: BF800001
	v_mul_f32_e32 v224, v40, v224                              // 00000001AC2C: 0BC1C128
	v_mul_f32_e32 v225, v40, v225                              // 00000001AC30: 0BC3C328
	v_mul_f32_e32 v226, v40, v226                              // 00000001AC34: 0BC5C528
	v_mul_f32_e32 v227, v40, v227                              // 00000001AC38: 0BC7C728
	v_mul_f32_e32 v228, v40, v228                              // 00000001AC3C: 0BC9C928
	v_mul_f32_e32 v229, v40, v229                              // 00000001AC40: 0BCBCB28
	v_mul_f32_e32 v230, v40, v230                              // 00000001AC44: 0BCDCD28
	v_mul_f32_e32 v231, v40, v231                              // 00000001AC48: 0BCFCF28
	v_mov_b32_e32 v19, 0xffff0000                              // 00000001AC4C: 7E2602FF FFFF0000
	v_mov_b32_e32 v20, 0x7fff0000                              // 00000001AC54: 7E2802FF 7FFF0000
	v_mov_b32_e32 v21, 0x7fff                                  // 00000001AC5C: 7E2A02FF 00007FFF
	v_cmp_u_f32_e64 s[40:41], v224, v224                       // 00000001AC64: D0480028 0003C1E0
	v_add3_u32 v18, v224, v21, 1                               // 00000001AC6C: D1FF0012 02062BE0
	v_cndmask_b32_e64 v64, v18, v20, s[40:41]                  // 00000001AC74: D1000040 00A22912
	v_cmp_u_f32_e64 s[40:41], v225, v225                       // 00000001AC7C: D0480028 0003C3E1
	v_add3_u32 v18, v225, v21, 1                               // 00000001AC84: D1FF0012 02062BE1
	v_cndmask_b32_e64 v65, v18, v20, s[40:41]                  // 00000001AC8C: D1000041 00A22912
	v_perm_b32 v224, v65, v64, s52                             // 00000001AC94: D1ED00E0 00D28141
	v_cmp_u_f32_e64 s[40:41], v226, v226                       // 00000001AC9C: D0480028 0003C5E2
	v_add3_u32 v18, v226, v21, 1                               // 00000001ACA4: D1FF0012 02062BE2
	v_cndmask_b32_e64 v64, v18, v20, s[40:41]                  // 00000001ACAC: D1000040 00A22912
	v_cmp_u_f32_e64 s[40:41], v227, v227                       // 00000001ACB4: D0480028 0003C7E3
	v_add3_u32 v18, v227, v21, 1                               // 00000001ACBC: D1FF0012 02062BE3
	v_cndmask_b32_e64 v65, v18, v20, s[40:41]                  // 00000001ACC4: D1000041 00A22912
	v_perm_b32 v225, v65, v64, s52                             // 00000001ACCC: D1ED00E1 00D28141
	v_cmp_u_f32_e64 s[40:41], v228, v228                       // 00000001ACD4: D0480028 0003C9E4
	v_add3_u32 v18, v228, v21, 1                               // 00000001ACDC: D1FF0012 02062BE4
	v_cndmask_b32_e64 v64, v18, v20, s[40:41]                  // 00000001ACE4: D1000040 00A22912
	v_cmp_u_f32_e64 s[40:41], v229, v229                       // 00000001ACEC: D0480028 0003CBE5
	v_add3_u32 v18, v229, v21, 1                               // 00000001ACF4: D1FF0012 02062BE5
	v_cndmask_b32_e64 v65, v18, v20, s[40:41]                  // 00000001ACFC: D1000041 00A22912
	v_perm_b32 v226, v65, v64, s52                             // 00000001AD04: D1ED00E2 00D28141
	v_cmp_u_f32_e64 s[40:41], v230, v230                       // 00000001AD0C: D0480028 0003CDE6
	v_add3_u32 v18, v230, v21, 1                               // 00000001AD14: D1FF0012 02062BE6
	v_cndmask_b32_e64 v64, v18, v20, s[40:41]                  // 00000001AD1C: D1000040 00A22912
	v_cmp_u_f32_e64 s[40:41], v231, v231                       // 00000001AD24: D0480028 0003CFE7
	v_add3_u32 v18, v231, v21, 1                               // 00000001AD2C: D1FF0012 02062BE7
	v_cndmask_b32_e64 v65, v18, v20, s[40:41]                  // 00000001AD34: D1000041 00A22912
	v_perm_b32 v227, v65, v64, s52                             // 00000001AD3C: D1ED00E3 00D28141
	s_nop 1                                                    // 00000001AD44: BF800001
	v_lshrrev_b32_e32 v64, 4, v0                               // 00000001AD48: 20800084
	v_mul_i32_i24_e32 v68, 34, v64                             // 00000001AD4C: 0C8880A2
	v_and_b32_e32 v64, 15, v0                                  // 00000001AD50: 2680008F
	v_mul_i32_i24_e32 v65, 2, v64                              // 00000001AD54: 0C828082
	v_add_u32_e32 v68, v65, v68                                // 00000001AD58: 68888941
	s_mul_i32 s60, s7, 0x88                                    // 00000001AD5C: 923CFF07 00000088
	v_add_u32_e32 v68, s60, v68                                // 00000001AD64: 6888883C
	v_lshlrev_b32_e32 v68, 2, v68                              // 00000001AD68: 24888882
	ds_write_b64 v68, v[224:225] offset:41472                  // 00000001AD6C: D89AA200 0000E044
	ds_write_b64 v68, v[226:227] offset:43648                  // 00000001AD74: D89AAA80 0000E244
	v_lshrrev_b32_e32 v64, 1, v0                               // 00000001AD7C: 20800081
	v_mul_i32_i24_e32 v68, 34, v64                             // 00000001AD80: 0C8880A2
	v_and_b32_e32 v65, 1, v0                                   // 00000001AD84: 26820081
	v_add_u32_e32 v68, v65, v68                                // 00000001AD88: 68888941
	s_mul_i32 s60, s7, 2                                       // 00000001AD8C: 923C8207
	v_add_u32_e32 v68, s60, v68                                // 00000001AD90: 6888883C
	v_lshlrev_b32_e32 v68, 2, v68                              // 00000001AD94: 24888882
	s_waitcnt lgkmcnt(0)                                       // 00000001AD98: BF8CC07F
	s_barrier                                                  // 00000001AD9C: BF8A0000
	ds_read_b32 v224, v68 offset:41472                         // 00000001ADA0: D86CA200 E0000044
	ds_read_b32 v225, v68 offset:41504                         // 00000001ADA8: D86CA220 E1000044
	ds_read_b32 v226, v68 offset:41536                         // 00000001ADB0: D86CA240 E2000044
	ds_read_b32 v227, v68 offset:41568                         // 00000001ADB8: D86CA260 E3000044
	s_mul_i32 s60, s7, 0x100                                   // 00000001ADC0: 923CFF07 00000100
	v_lshlrev_b32_e32 v64, 2, v0                               // 00000001ADC8: 24800082
	v_add_u32_e64 v64, v64, s60                                // 00000001ADCC: D1340040 00007940
	s_waitcnt lgkmcnt(0)                                       // 00000001ADD4: BF8CC07F
	buffer_store_dword v224, v64, s[8:11], 0 offen             // 00000001ADD8: E0701000 8002E040
	buffer_store_dword v225, v64, s[8:11], 0 offen offset:1024 // 00000001ADE0: E0701400 8002E140
	buffer_store_dword v226, v64, s[8:11], 0 offen offset:2048 // 00000001ADE8: E0701800 8002E240
	buffer_store_dword v227, v64, s[8:11], 0 offen offset:3072 // 00000001ADF0: E0701C00 8002E340
	s_add_u32 s8, s75, s8                                      // 00000001ADF8: 8008084B
	s_addc_u32 s9, 0, s9                                       // 00000001ADFC: 82090980

000000000001ae00 <label_6300>:
	s_branch label_A240                                        // 00000001AE00: BF823F3F

000000000001ae04 <label_6301>:
	s_mul_i32 s60, s3, s65                                     // 00000001AE04: 923C4103
	s_mul_i32 s60, s60, 4                                      // 00000001AE08: 923C843C
	s_add_u32 s24, s60, s24                                    // 00000001AE0C: 8018183C
	s_addc_u32 s25, 0, s25                                     // 00000001AE10: 82191980
	s_mov_b32 s56, 64                                          // 00000001AE14: BEB800C0
	s_add_u32 s73, s72, 15                                     // 00000001AE18: 80498F48
	s_lshr_b32 s73, s73, 4                                     // 00000001AE1C: 8F498449
	s_mul_i32 s60, s73, 4                                      // 00000001AE20: 923C8449
	s_mov_b32 s26, s60                                         // 00000001AE24: BE9A003C
	v_and_b32_e32 v65, 3, v0                                   // 00000001AE28: 26820083
	v_cmp_eq_u32_e64 s[60:61], 0, v65                          // 00000001AE2C: D0CA003C 00028280
	v_and_b32_e32 v64, 12, v0                                  // 00000001AE34: 2680008C
	v_add_u32_e32 v1, s7, v64                                  // 00000001AE38: 68028007
	v_cndmask_b32_e64 v1, 0, v1, s[60:61]                      // 00000001AE3C: D1000001 00F20280
	v_and_b32_e32 v65, 3, v0                                   // 00000001AE44: 26820083
	v_cmp_eq_u32_e64 s[60:61], 1, v65                          // 00000001AE48: D0CA003C 00028281
	v_lshrrev_b32_e32 v64, 4, v0                               // 00000001AE50: 20800084
	v_and_b32_e32 v65, 12, v0                                  // 00000001AE54: 2682008C
	v_add_u32_e32 v64, v65, v64                                // 00000001AE58: 68808141
	v_cndmask_b32_e64 v64, 0, v64, s[60:61]                    // 00000001AE5C: D1000040 00F28080
	v_add_u32_e32 v1, v1, v64                                  // 00000001AE64: 68028101
	v_lshlrev_b32_e32 v1, 2, v1                                // 00000001AE68: 24020282
	buffer_load_dword v16, v1, s[24:27], 0 offen               // 00000001AE6C: E0501000 80061001
	v_add_u32_e32 v1, s56, v1                                  // 00000001AE74: 68020238
	buffer_load_dword v17, v1, s[24:27], 0 offen               // 00000001AE78: E0501000 80061101
	s_cmp_le_u32 s73, 32                                       // 00000001AE80: BF0BA049
	s_cselect_b32 s56, 0, s56                                  // 00000001AE84: 85383880
	s_mul_i32 s60, s2, s67                                     // 00000001AE88: 923C4302
	s_mul_i32 s61, s84, s74                                    // 00000001AE8C: 923D4A54
	s_add_u32 s60, s60, s61                                    // 00000001AE90: 803C3D3C
	s_add_u32 s12, s60, s12                                    // 00000001AE94: 800C0C3C
	s_addc_u32 s13, 0, s13                                     // 00000001AE98: 820D0D80
	s_mul_i32 s60, s7, 0x108                                   // 00000001AE9C: 923CFF07 00000108
	s_add_u32 m0, 0, s60                                       // 00000001AEA4: 807C3C80
	s_mul_i32 s60, s7, 0x100                                   // 00000001AEA8: 923CFF07 00000100
	v_lshlrev_b32_e32 v64, 2, v0                               // 00000001AEB0: 24800082
	v_add_u32_e64 v64, v64, s60                                // 00000001AEB4: D1340040 00007940
	v_add_u32_e32 v65, 0x400, v64                              // 00000001AEBC: 688280FF 00000400
	v_add_u32_e32 v66, 0x800, v64                              // 00000001AEC4: 688480FF 00000800
	v_add_u32_e32 v67, 0xc00, v64                              // 00000001AECC: 688680FF 00000C00
	buffer_load_dword v64, s[12:15], 0 offen lds               // 00000001AED4: E0511000 80030040
	s_mul_i32 s60, 4, 0x108                                    // 00000001AEDC: 923CFF84 00000108
	s_add_u32 m0, m0, s60                                      // 00000001AEE4: 807C3C7C
	buffer_load_dword v65, s[12:15], 0 offen lds               // 00000001AEE8: E0511000 80030041
	s_mul_i32 s60, 4, 0x108                                    // 00000001AEF0: 923CFF84 00000108
	s_add_u32 m0, m0, s60                                      // 00000001AEF8: 807C3C7C
	buffer_load_dword v66, s[12:15], 0 offen lds               // 00000001AEFC: E0511000 80030042
	s_mul_i32 s60, 4, 0x108                                    // 00000001AF04: 923CFF84 00000108
	s_add_u32 m0, m0, s60                                      // 00000001AF0C: 807C3C7C
	buffer_load_dword v67, s[12:15], 0 offen lds               // 00000001AF10: E0511000 80030043
	s_mul_i32 s60, 4, 0x108                                    // 00000001AF18: 923CFF84 00000108
	s_add_u32 m0, m0, s60                                      // 00000001AF20: 807C3C7C
	s_add_u32 s12, s74, s12                                    // 00000001AF24: 800C0C4A
	s_addc_u32 s13, 0, s13                                     // 00000001AF28: 820D0D80
	buffer_load_dword v64, s[12:15], 0 offen lds               // 00000001AF2C: E0511000 80030040
	s_mul_i32 s60, 4, 0x108                                    // 00000001AF34: 923CFF84 00000108
	s_add_u32 m0, m0, s60                                      // 00000001AF3C: 807C3C7C
	buffer_load_dword v65, s[12:15], 0 offen lds               // 00000001AF40: E0511000 80030041
	s_mul_i32 s60, 4, 0x108                                    // 00000001AF48: 923CFF84 00000108
	s_add_u32 m0, m0, s60                                      // 00000001AF50: 807C3C7C
	buffer_load_dword v66, s[12:15], 0 offen lds               // 00000001AF54: E0511000 80030042
	s_mul_i32 s60, 4, 0x108                                    // 00000001AF5C: 923CFF84 00000108
	s_add_u32 m0, m0, s60                                      // 00000001AF64: 807C3C7C
	buffer_load_dword v67, s[12:15], 0 offen lds               // 00000001AF68: E0511000 80030043
	s_mul_i32 s60, 4, 0x108                                    // 00000001AF70: 923CFF84 00000108
	s_add_u32 m0, m0, s60                                      // 00000001AF78: 807C3C7C
	s_add_u32 s12, s74, s12                                    // 00000001AF7C: 800C0C4A
	s_addc_u32 s13, 0, s13                                     // 00000001AF80: 820D0D80
	buffer_load_dword v64, s[12:15], 0 offen lds               // 00000001AF84: E0511000 80030040
	s_mul_i32 s60, 4, 0x108                                    // 00000001AF8C: 923CFF84 00000108
	s_add_u32 m0, m0, s60                                      // 00000001AF94: 807C3C7C
	buffer_load_dword v65, s[12:15], 0 offen lds               // 00000001AF98: E0511000 80030041
	s_mul_i32 s60, 4, 0x108                                    // 00000001AFA0: 923CFF84 00000108
	s_add_u32 m0, m0, s60                                      // 00000001AFA8: 807C3C7C
	buffer_load_dword v66, s[12:15], 0 offen lds               // 00000001AFAC: E0511000 80030042
	s_mul_i32 s60, 4, 0x108                                    // 00000001AFB4: 923CFF84 00000108
	s_add_u32 m0, m0, s60                                      // 00000001AFBC: 807C3C7C
	buffer_load_dword v67, s[12:15], 0 offen lds               // 00000001AFC0: E0511000 80030043
	s_mul_i32 s60, 4, 0x108                                    // 00000001AFC8: 923CFF84 00000108
	s_add_u32 m0, m0, s60                                      // 00000001AFD0: 807C3C7C
	s_add_u32 s12, s74, s12                                    // 00000001AFD4: 800C0C4A
	s_addc_u32 s13, 0, s13                                     // 00000001AFD8: 820D0D80
	buffer_load_dword v64, s[12:15], 0 offen lds               // 00000001AFDC: E0511000 80030040
	s_mul_i32 s60, 4, 0x108                                    // 00000001AFE4: 923CFF84 00000108
	s_add_u32 m0, m0, s60                                      // 00000001AFEC: 807C3C7C
	buffer_load_dword v65, s[12:15], 0 offen lds               // 00000001AFF0: E0511000 80030041
	s_mul_i32 s60, 4, 0x108                                    // 00000001AFF8: 923CFF84 00000108
	s_add_u32 m0, m0, s60                                      // 00000001B000: 807C3C7C
	buffer_load_dword v66, s[12:15], 0 offen lds               // 00000001B004: E0511000 80030042
	s_mul_i32 s60, 4, 0x108                                    // 00000001B00C: 923CFF84 00000108
	s_add_u32 m0, m0, s60                                      // 00000001B014: 807C3C7C
	buffer_load_dword v67, s[12:15], 0 offen lds               // 00000001B018: E0511000 80030043
	s_mul_i32 s60, 4, 0x108                                    // 00000001B020: 923CFF84 00000108
	s_add_u32 m0, m0, s60                                      // 00000001B028: 807C3C7C
	s_add_u32 s12, s74, s12                                    // 00000001B02C: 800C0C4A
	s_addc_u32 s13, 0, s13                                     // 00000001B030: 820D0D80
	v_lshrrev_b32_e32 v64, 4, v0                               // 00000001B034: 20800084
	v_lshlrev_b32_e32 v64, 2, v64                              // 00000001B038: 24808082
	v_and_b32_e32 v65, 3, v0                                   // 00000001B03C: 26820083
	v_add_u32_e32 v64, v65, v64                                // 00000001B040: 68808141
	v_lshlrev_b32_e32 v59, 2, v64                              // 00000001B044: 24768082
	v_mov_b32_e32 v60, v59                                     // 00000001B048: 7E78033B
	s_mul_i32 s60, s2, 64                                      // 00000001B04C: 923CC002
	s_add_u32 s32, s60, s32                                    // 00000001B050: 8020203C
	s_addc_u32 s33, 0, s33                                     // 00000001B054: 82212180
	s_add_u32 s36, s60, s36                                    // 00000001B058: 8024243C
	s_addc_u32 s37, 0, s37                                     // 00000001B05C: 82252580
	s_mul_i32 s60, s2, s76                                     // 00000001B060: 923C4C02
	s_mul_i32 s61, s84, s75                                    // 00000001B064: 923D4B54
	s_add_u32 s60, s60, s61                                    // 00000001B068: 803C3D3C
	s_add_u32 s8, s60, s8                                      // 00000001B06C: 8008083C
	s_addc_u32 s9, 0, s9                                       // 00000001B070: 82090980
	s_mov_b32 s70, 0                                           // 00000001B074: BEC60080
	s_and_b32 s71, s72, 0xffffff00                             // 00000001B078: 8647FF48 FFFFFF00
	s_mov_b32 s42, 0xff00ff00                                  // 00000001B080: BEAA00FF FF00FF00
	s_mov_b32 s43, 0xff00ff00                                  // 00000001B088: BEAB00FF FF00FF00
	s_mov_b32 s44, 0xf0f0f0f0                                  // 00000001B090: BEAC00FF F0F0F0F0
	s_mov_b32 s45, 0xf0f0f0f0                                  // 00000001B098: BEAD00FF F0F0F0F0
	s_mov_b32 s78, 0xff00ff                                    // 00000001B0A0: BECE00FF 00FF00FF
	s_mov_b32 s79, 0xff00ff                                    // 00000001B0A8: BECF00FF 00FF00FF
	v_mul_i32_i24_e64 v63, 64, s66                             // 00000001B0B0: D106003F 000084C0
	v_mov_b32_e32 v54, s68                                     // 00000001B0B8: 7E6C0244
	s_mov_b32 s52, 0x7060302                                   // 00000001B0BC: BEB400FF 07060302
	s_mov_b32 s53, 0x400                                       // 00000001B0C4: BEB500FF 00000400
	s_mov_b32 s54, 0x40100                                     // 00000001B0CC: BEB600FF 00040100
	s_mov_b32 s55, 0x4020100                                   // 00000001B0D4: BEB700FF 04020100
	s_mov_b32 s6, 0x3fb8aa3b                                   // 00000001B0DC: BE8600FF 3FB8AA3B
	v_mov_b32_e32 v11, 0xff800000                              // 00000001B0E4: 7E1602FF FF800000
	v_mov_b32_e32 v12, 0xff800000                              // 00000001B0EC: 7E1802FF FF800000
	v_mov_b32_e32 v49, 0                                       // 00000001B0F4: 7E620280
	v_mov_b32_e32 v50, 0                                       // 00000001B0F8: 7E640280
	v_mov_b32_e32 v51, 0                                       // 00000001B0FC: 7E660280
	v_mov_b32_e32 v52, 0                                       // 00000001B100: 7E680280
	v_mov_b32_e32 v38, 0                                       // 00000001B104: 7E4C0280
	v_mov_b32_e32 v39, 0                                       // 00000001B108: 7E4E0280
	v_mov_b32_e32 v40, 0                                       // 00000001B10C: 7E500280
	v_mov_b32_e32 v41, 0                                       // 00000001B110: 7E520280
	v_mov_b32_e32 v44, 0                                       // 00000001B114: 7E580280
	v_mov_b32_e32 v45, 0                                       // 00000001B118: 7E5A0280
	v_mov_b32_e32 v46, 0                                       // 00000001B11C: 7E5C0280
	v_mov_b32_e32 v47, 0                                       // 00000001B120: 7E5E0280
	v_add_u32_e32 v1, s56, v1                                  // 00000001B124: 68020238
	v_and_b32_e32 v7, 15, v0                                   // 00000001B128: 260E008F
	v_lshlrev_b32_e32 v7, 2, v7                                // 00000001B12C: 240E0E82
	v_lshlrev_b32_e32 v8, 2, v0                                // 00000001B130: 24100082
	s_mul_i32 s60, 0x100, s7                                   // 00000001B134: 923C07FF 00000100
	v_add_u32_e32 v8, s60, v8                                  // 00000001B13C: 6810103C
	v_lshrrev_b32_e32 v64, 4, v0                               // 00000001B140: 20800084
	v_lshlrev_b32_e32 v65, 6, v64                              // 00000001B144: 24828086
	v_and_b32_e32 v64, 15, v0                                  // 00000001B148: 2680008F
	v_lshlrev_b32_e32 v64, 1, v64                              // 00000001B14C: 24808081
	v_add_u32_e32 v65, v64, v65                                // 00000001B150: 68828340
	v_lshlrev_b32_e32 v9, 2, v65                               // 00000001B154: 24128282
	v_lshrrev_b32_e32 v64, 5, v0                               // 00000001B158: 20800085
	v_lshlrev_b32_e32 v65, 5, v64                              // 00000001B15C: 24828085
	v_and_b32_e32 v64, 31, v0                                  // 00000001B160: 2680009F
	v_lshrrev_b32_e32 v66, 4, v64                              // 00000001B164: 20848084
	v_add_u32_e32 v65, v66, v65                                // 00000001B168: 68828342
	v_and_b32_e32 v64, 15, v0                                  // 00000001B16C: 2680008F
	v_lshlrev_b32_e32 v64, 1, v64                              // 00000001B170: 24808081
	v_add_u32_e32 v65, v64, v65                                // 00000001B174: 68828340
	v_lshlrev_b32_e32 v64, 2, v65                              // 00000001B178: 24808282
	s_mul_i32 s60, 0x100, s7                                   // 00000001B17C: 923C07FF 00000100
	v_add_u32_e64 v10, v64, s60                                // 00000001B184: D134000A 00007940
	v_lshlrev_b32_e32 v5, 4, v0                                // 00000001B18C: 240A0084
	s_mul_i32 s60, s2, s69                                     // 00000001B190: 923C4502
	s_add_u32 s16, s60, s16                                    // 00000001B194: 8010103C
	s_addc_u32 s17, 0, s17                                     // 00000001B198: 82111180
	v_and_b32_e32 v64, 15, v0                                  // 00000001B19C: 2680008F
	v_lshlrev_b32_e32 v6, 4, v64                               // 00000001B1A0: 240C8084
	s_mul_i32 s61, s2, s69                                     // 00000001B1A4: 923D4502
	s_mul_i32 s60, s7, 0x100                                   // 00000001B1A8: 923CFF07 00000100
	s_add_u32 s60, s60, s61                                    // 00000001B1B0: 803C3D3C
	s_add_u32 s20, s60, s20                                    // 00000001B1B4: 8014143C
	s_addc_u32 s21, 0, s21                                     // 00000001B1B8: 82151580
	s_waitcnt vmcnt(4)                                         // 00000001B1BC: BF8C0F74
	v_mul_u32_u24_dpp v64, v16, v54 row_newbcast:0 row_mask:0xf bank_mask:0xf// 00000001B1C0: 10806CFA FF015010
	v_mul_u32_u24_dpp v65, v16, v54 row_newbcast:4 row_mask:0xf bank_mask:0xf// 00000001B1C8: 10826CFA FF015410
	v_mul_u32_u24_dpp v66, v16, v54 row_newbcast:8 row_mask:0xf bank_mask:0xf// 00000001B1D0: 10846CFA FF015810
	v_mul_u32_u24_dpp v67, v16, v54 row_newbcast:12 row_mask:0xf bank_mask:0xf// 00000001B1D8: 10866CFA FF015C10
	v_add_u32_e32 v22, v64, v5                                 // 00000001B1E0: 682C0B40
	v_add_u32_e32 v23, v65, v5                                 // 00000001B1E4: 682E0B41
	v_add_u32_e32 v24, v66, v5                                 // 00000001B1E8: 68300B42
	v_add_u32_e32 v25, v67, v5                                 // 00000001B1EC: 68320B43
	v_mul_u32_u24_dpp v64, v16, v54 row_newbcast:1 row_mask:0xf bank_mask:0xf// 00000001B1F0: 10806CFA FF015110
	v_mul_u32_u24_dpp v65, v16, v54 row_newbcast:5 row_mask:0xf bank_mask:0xf// 00000001B1F8: 10826CFA FF015510
	v_mul_u32_u24_dpp v66, v16, v54 row_newbcast:9 row_mask:0xf bank_mask:0xf// 00000001B200: 10846CFA FF015910
	v_mul_u32_u24_dpp v67, v16, v54 row_newbcast:13 row_mask:0xf bank_mask:0xf// 00000001B208: 10866CFA FF015D10
	v_add_u32_e32 v30, v64, v6                                 // 00000001B210: 683C0D40
	v_add_u32_e32 v31, v65, v6                                 // 00000001B214: 683E0D41
	v_add_u32_e32 v32, v66, v6                                 // 00000001B218: 68400D42
	v_add_u32_e32 v33, v67, v6                                 // 00000001B21C: 68420D43
	v_mul_u32_u24_dpp v64, v16, v63 quad_perm:[0,0,0,0] row_mask:0xf bank_mask:0xf// 00000001B220: 10807EFA FF000010
	v_add_u32_e32 v2, v64, v59                                 // 00000001B228: 68047740
	v_mul_u32_u24_dpp v64, v16, v63 quad_perm:[0,0,0,0] row_mask:0xf bank_mask:0xf// 00000001B22C: 10807EFA FF000010
	v_add_u32_e32 v55, v64, v60                                // 00000001B234: 686E7940
	buffer_load_dword v42, v2, s[32:35], 0 offen               // 00000001B238: E0501000 80082A02
	buffer_load_dwordx4 a[0:3], v22, s[16:19], 0 offen         // 00000001B240: E05C1000 80840016
	buffer_load_dwordx4 a[4:7], v22, s[16:19], 0 offen offset:1024// 00000001B248: E05C1400 80840416
	buffer_load_dwordx4 a[8:11], v23, s[16:19], 0 offen        // 00000001B250: E05C1000 80840817
	buffer_load_dwordx4 a[12:15], v23, s[16:19], 0 offen offset:1024// 00000001B258: E05C1400 80840C17
	buffer_load_dwordx4 a[16:19], v24, s[16:19], 0 offen       // 00000001B260: E05C1000 80841018
	buffer_load_dwordx4 a[20:23], v24, s[16:19], 0 offen offset:1024// 00000001B268: E05C1400 80841418
	buffer_load_dwordx4 a[24:27], v25, s[16:19], 0 offen       // 00000001B270: E05C1000 80841819
	buffer_load_dwordx4 a[28:31], v25, s[16:19], 0 offen offset:1024// 00000001B278: E05C1400 80841C19
	buffer_load_dword v57, v55, s[36:39], 0 offen              // 00000001B280: E0501000 80093937
	buffer_load_dwordx4 a[64:67], v30, s[20:23], 0 offen       // 00000001B288: E05C1000 8085401E
	buffer_load_dwordx4 a[68:71], v31, s[20:23], 0 offen       // 00000001B290: E05C1000 8085441F
	buffer_load_dwordx4 a[72:75], v32, s[20:23], 0 offen       // 00000001B298: E05C1000 80854820
	buffer_load_dwordx4 a[76:79], v33, s[20:23], 0 offen       // 00000001B2A0: E05C1000 80854C21
	buffer_load_dwordx4 a[80:83], v30, s[20:23], 0 offen offset:1024// 00000001B2A8: E05C1400 8085501E
	buffer_load_dwordx4 a[84:87], v31, s[20:23], 0 offen offset:1024// 00000001B2B0: E05C1400 8085541F
	buffer_load_dwordx4 a[88:91], v32, s[20:23], 0 offen offset:1024// 00000001B2B8: E05C1400 80855820
	buffer_load_dwordx4 a[92:95], v33, s[20:23], 0 offen offset:1024// 00000001B2C0: E05C1400 80855C21
	v_lshrrev_b32_e32 v64, 4, v0                               // 00000001B2C8: 20800084
	v_lshlrev_b32_e32 v65, 1, v64                              // 00000001B2CC: 24828081
	v_and_b32_e32 v64, 15, v0                                  // 00000001B2D0: 2680008F
	v_mul_i32_i24_e32 v64, 0x42, v64                           // 00000001B2D4: 0C8080FF 00000042
	v_add_u32_e32 v65, v64, v65                                // 00000001B2DC: 68828340
	v_lshlrev_b32_e32 v4, 2, v65                               // 00000001B2E0: 24088282
	s_mul_i32 s60, s7, 32                                      // 00000001B2E4: 923CA007
	v_add_u32_e32 v4, s60, v4                                  // 00000001B2E8: 6808083C
	s_waitcnt vmcnt(16) lgkmcnt(0)                             // 00000001B2EC: BF8C4070
	s_barrier                                                  // 00000001B2F0: BF8A0000
	ds_read_b64 v[80:81], v4                                   // 00000001B2F4: D8EC0000 50000004
	ds_read_b64 v[84:85], v4 offset:128                        // 00000001B2FC: D8EC0080 54000004
	s_waitcnt lgkmcnt(0)                                       // 00000001B304: BF8CC07F
	v_and_b32_e32 v83, 0xffff0000, v81                         // 00000001B308: 26A6A2FF FFFF0000
	v_lshlrev_b32_e32 v82, 16, v81                             // 00000001B310: 24A4A290
	v_and_b32_e32 v81, 0xffff0000, v80                         // 00000001B314: 26A2A0FF FFFF0000
	v_lshlrev_b32_e32 v80, 16, v80                             // 00000001B31C: 24A0A090
	v_and_b32_e32 v87, 0xffff0000, v85                         // 00000001B320: 26AEAAFF FFFF0000
	v_lshlrev_b32_e32 v86, 16, v85                             // 00000001B328: 24ACAA90
	v_and_b32_e32 v85, 0xffff0000, v84                         // 00000001B32C: 26AAA8FF FFFF0000
	v_lshlrev_b32_e32 v84, 16, v84                             // 00000001B334: 24A8A890
	v_mov_b32_e32 v48, 0x358637bd                              // 00000001B338: 7E6002FF 358637BD
	v_max3_f32 v48, |v80|, |v81|, v48                          // 00000001B340: D1D30330 04C2A350
	v_max3_f32 v48, |v82|, |v83|, v48                          // 00000001B348: D1D30330 04C2A752
	v_max3_f32 v48, |v84|, |v85|, v48                          // 00000001B350: D1D30330 04C2AB54
	v_max3_f32 v48, |v86|, |v87|, v48                          // 00000001B358: D1D30330 04C2AF56
	ds_write_b32 v8, v48 offset:16896                          // 00000001B360: D81A4200 00003008
	s_waitcnt lgkmcnt(0)                                       // 00000001B368: BF8CC07F
	s_barrier                                                  // 00000001B36C: BF8A0000
	ds_read_b32 v64, v7 offset:16896                           // 00000001B370: D86C4200 40000007
	ds_read_b32 v65, v7 offset:16960                           // 00000001B378: D86C4240 41000007
	ds_read_b32 v66, v7 offset:17024                           // 00000001B380: D86C4280 42000007
	ds_read_b32 v67, v7 offset:17088                           // 00000001B388: D86C42C0 43000007
	ds_read_b32 v68, v7 offset:17152                           // 00000001B390: D86C4300 44000007
	ds_read_b32 v69, v7 offset:17216                           // 00000001B398: D86C4340 45000007
	ds_read_b32 v70, v7 offset:17280                           // 00000001B3A0: D86C4380 46000007
	ds_read_b32 v71, v7 offset:17344                           // 00000001B3A8: D86C43C0 47000007
	ds_read_b32 v72, v7 offset:17408                           // 00000001B3B0: D86C4400 48000007
	ds_read_b32 v73, v7 offset:17472                           // 00000001B3B8: D86C4440 49000007
	ds_read_b32 v74, v7 offset:17536                           // 00000001B3C0: D86C4480 4A000007
	ds_read_b32 v75, v7 offset:17600                           // 00000001B3C8: D86C44C0 4B000007
	ds_read_b32 v76, v7 offset:17664                           // 00000001B3D0: D86C4500 4C000007
	ds_read_b32 v77, v7 offset:17728                           // 00000001B3D8: D86C4540 4D000007
	ds_read_b32 v78, v7 offset:17792                           // 00000001B3E0: D86C4580 4E000007
	ds_read_b32 v79, v7 offset:17856                           // 00000001B3E8: D86C45C0 4F000007
	s_waitcnt lgkmcnt(0)                                       // 00000001B3F0: BF8CC07F
	v_max3_f32 v48, |v64|, |v65|, v48                          // 00000001B3F4: D1D30330 04C28340
	v_max3_f32 v48, |v66|, |v67|, v48                          // 00000001B3FC: D1D30330 04C28742
	v_max3_f32 v48, |v68|, |v69|, v48                          // 00000001B404: D1D30330 04C28B44
	v_max3_f32 v48, |v70|, |v71|, v48                          // 00000001B40C: D1D30330 04C28F46
	v_max3_f32 v48, |v72|, |v73|, v48                          // 00000001B414: D1D30330 04C29348
	v_max3_f32 v48, |v74|, |v75|, v48                          // 00000001B41C: D1D30330 04C2974A
	v_max3_f32 v48, |v76|, |v77|, v48                          // 00000001B424: D1D30330 04C29B4C
	v_max3_f32 v48, |v78|, |v79|, v48                          // 00000001B42C: D1D30330 04C29F4E
	v_rcp_f32_e32 v48, v48                                     // 00000001B434: 7E604530
	s_nop 1                                                    // 00000001B438: BF800001
	v_mul_f32_e32 v48, 0x42fe0000, v48                         // 00000001B43C: 0A6060FF 42FE0000
	v_mul_f32_e32 v80, v48, v80                                // 00000001B444: 0AA0A130
	v_mul_f32_e32 v81, v48, v81                                // 00000001B448: 0AA2A330
	v_mul_f32_e32 v82, v48, v82                                // 00000001B44C: 0AA4A530
	v_mul_f32_e32 v83, v48, v83                                // 00000001B450: 0AA6A730
	v_mul_f32_e32 v84, v48, v84                                // 00000001B454: 0AA8A930
	v_mul_f32_e32 v85, v48, v85                                // 00000001B458: 0AAAAB30
	v_mul_f32_e32 v86, v48, v86                                // 00000001B45C: 0AACAD30
	v_mul_f32_e32 v87, v48, v87                                // 00000001B460: 0AAEAF30
	v_cvt_i32_f32_e32 v80, v80                                 // 00000001B464: 7EA01150
	v_cvt_i32_f32_e32 v81, v81                                 // 00000001B468: 7EA21151
	v_cvt_i32_f32_e32 v82, v82                                 // 00000001B46C: 7EA41152
	v_cvt_i32_f32_e32 v83, v83                                 // 00000001B470: 7EA61153
	v_cvt_i32_f32_e32 v84, v84                                 // 00000001B474: 7EA81154
	v_cvt_i32_f32_e32 v85, v85                                 // 00000001B478: 7EAA1155
	v_cvt_i32_f32_e32 v86, v86                                 // 00000001B47C: 7EAC1156
	v_cvt_i32_f32_e32 v87, v87                                 // 00000001B480: 7EAE1157
	v_rcp_f32_e32 v18, v48                                     // 00000001B484: 7E244530
	v_perm_b32 v80, v81, v80, s53                              // 00000001B488: D1ED0050 00D6A151
	v_perm_b32 v80, v82, v80, s54                              // 00000001B490: D1ED0050 00DAA152
	v_perm_b32 v80, v83, v80, s55                              // 00000001B498: D1ED0050 00DEA153
	v_perm_b32 v81, v85, v84, s53                              // 00000001B4A0: D1ED0051 00D6A955
	v_perm_b32 v81, v86, v81, s54                              // 00000001B4A8: D1ED0051 00DAA356
	v_perm_b32 v81, v87, v81, s55                              // 00000001B4B0: D1ED0051 00DEA357
	ds_write_b32 v10, v80 offset:25088                         // 00000001B4B8: D81A6200 0000500A
	ds_write_b32 v10, v81 offset:26112                         // 00000001B4C0: D81A6600 0000510A
	s_waitcnt lgkmcnt(0)                                       // 00000001B4C8: BF8CC07F
	s_barrier                                                  // 00000001B4CC: BF8A0000
	ds_read_b64 v[80:81], v9 offset:25088                      // 00000001B4D0: D8EC6200 50000009
	ds_read_b64 v[82:83], v9 offset:25216                      // 00000001B4D8: D8EC6280 52000009
	ds_read_b64 v[84:85], v9 offset:26112                      // 00000001B4E0: D8EC6600 54000009
	ds_read_b64 v[86:87], v9 offset:26240                      // 00000001B4E8: D8EC6680 56000009
	v_mov_b32_e32 v208, 0                                      // 00000001B4F0: 7FA00280
	v_mov_b32_e32 v209, 0                                      // 00000001B4F4: 7FA20280
	v_mov_b32_e32 v210, 0                                      // 00000001B4F8: 7FA40280
	v_mov_b32_e32 v211, 0                                      // 00000001B4FC: 7FA60280
	v_mov_b32_e32 v212, 0                                      // 00000001B500: 7FA80280
	v_mov_b32_e32 v213, 0                                      // 00000001B504: 7FAA0280
	v_mov_b32_e32 v214, 0                                      // 00000001B508: 7FAC0280
	v_mov_b32_e32 v215, 0                                      // 00000001B50C: 7FAE0280
	v_mov_b32_e32 v176, 0                                      // 00000001B510: 7F600280
	v_mov_b32_e32 v177, 0                                      // 00000001B514: 7F620280
	v_mov_b32_e32 v178, 0                                      // 00000001B518: 7F640280
	v_mov_b32_e32 v179, 0                                      // 00000001B51C: 7F660280
	v_mov_b32_e32 v180, 0                                      // 00000001B520: 7F680280
	v_mov_b32_e32 v181, 0                                      // 00000001B524: 7F6A0280
	v_mov_b32_e32 v182, 0                                      // 00000001B528: 7F6C0280
	v_mov_b32_e32 v183, 0                                      // 00000001B52C: 7F6E0280
	ds_read_b64 v[88:89], v4 offset:4224                       // 00000001B530: D8EC1080 58000004
	ds_read_b64 v[92:93], v4 offset:4352                       // 00000001B538: D8EC1100 5C000004
	s_waitcnt lgkmcnt(0)                                       // 00000001B540: BF8CC07F
	v_and_b32_e32 v91, 0xffff0000, v89                         // 00000001B544: 26B6B2FF FFFF0000
	v_lshlrev_b32_e32 v90, 16, v89                             // 00000001B54C: 24B4B290
	v_and_b32_e32 v89, 0xffff0000, v88                         // 00000001B550: 26B2B0FF FFFF0000
	v_lshlrev_b32_e32 v88, 16, v88                             // 00000001B558: 24B0B090
	v_and_b32_e32 v95, 0xffff0000, v93                         // 00000001B55C: 26BEBAFF FFFF0000
	v_lshlrev_b32_e32 v94, 16, v93                             // 00000001B564: 24BCBA90
	v_and_b32_e32 v93, 0xffff0000, v92                         // 00000001B568: 26BAB8FF FFFF0000
	v_lshlrev_b32_e32 v92, 16, v92                             // 00000001B570: 24B8B890
	v_mov_b32_e32 v48, 0x358637bd                              // 00000001B574: 7E6002FF 358637BD
	v_max3_f32 v48, |v88|, |v89|, v48                          // 00000001B57C: D1D30330 04C2B358
	v_max3_f32 v48, |v90|, |v91|, v48                          // 00000001B584: D1D30330 04C2B75A
	v_max3_f32 v48, |v92|, |v93|, v48                          // 00000001B58C: D1D30330 04C2BB5C
	v_max3_f32 v48, |v94|, |v95|, v48                          // 00000001B594: D1D30330 04C2BF5E
	ds_write_b32 v8, v48 offset:16896                          // 00000001B59C: D81A4200 00003008
	s_waitcnt lgkmcnt(0)                                       // 00000001B5A4: BF8CC07F
	s_barrier                                                  // 00000001B5A8: BF8A0000
	ds_read_b32 v64, v7 offset:16896                           // 00000001B5AC: D86C4200 40000007
	ds_read_b32 v65, v7 offset:16960                           // 00000001B5B4: D86C4240 41000007
	ds_read_b32 v66, v7 offset:17024                           // 00000001B5BC: D86C4280 42000007
	ds_read_b32 v67, v7 offset:17088                           // 00000001B5C4: D86C42C0 43000007
	ds_read_b32 v68, v7 offset:17152                           // 00000001B5CC: D86C4300 44000007
	ds_read_b32 v69, v7 offset:17216                           // 00000001B5D4: D86C4340 45000007
	ds_read_b32 v70, v7 offset:17280                           // 00000001B5DC: D86C4380 46000007
	ds_read_b32 v71, v7 offset:17344                           // 00000001B5E4: D86C43C0 47000007
	ds_read_b32 v72, v7 offset:17408                           // 00000001B5EC: D86C4400 48000007
	ds_read_b32 v73, v7 offset:17472                           // 00000001B5F4: D86C4440 49000007
	ds_read_b32 v74, v7 offset:17536                           // 00000001B5FC: D86C4480 4A000007
	ds_read_b32 v75, v7 offset:17600                           // 00000001B604: D86C44C0 4B000007
	ds_read_b32 v76, v7 offset:17664                           // 00000001B60C: D86C4500 4C000007
	ds_read_b32 v77, v7 offset:17728                           // 00000001B614: D86C4540 4D000007
	ds_read_b32 v78, v7 offset:17792                           // 00000001B61C: D86C4580 4E000007
	ds_read_b32 v79, v7 offset:17856                           // 00000001B624: D86C45C0 4F000007
	s_waitcnt lgkmcnt(0)                                       // 00000001B62C: BF8CC07F
	v_max3_f32 v48, |v64|, |v65|, v48                          // 00000001B630: D1D30330 04C28340
	v_max3_f32 v48, |v66|, |v67|, v48                          // 00000001B638: D1D30330 04C28742
	v_max3_f32 v48, |v68|, |v69|, v48                          // 00000001B640: D1D30330 04C28B44
	v_max3_f32 v48, |v70|, |v71|, v48                          // 00000001B648: D1D30330 04C28F46
	v_max3_f32 v48, |v72|, |v73|, v48                          // 00000001B650: D1D30330 04C29348
	v_max3_f32 v48, |v74|, |v75|, v48                          // 00000001B658: D1D30330 04C2974A
	v_max3_f32 v48, |v76|, |v77|, v48                          // 00000001B660: D1D30330 04C29B4C
	v_max3_f32 v48, |v78|, |v79|, v48                          // 00000001B668: D1D30330 04C29F4E
	v_rcp_f32_e32 v48, v48                                     // 00000001B670: 7E604530
	s_nop 1                                                    // 00000001B674: BF800001
	v_mul_f32_e32 v48, 0x42fe0000, v48                         // 00000001B678: 0A6060FF 42FE0000
	v_mul_f32_e32 v88, v48, v88                                // 00000001B680: 0AB0B130
	v_mul_f32_e32 v89, v48, v89                                // 00000001B684: 0AB2B330
	v_mul_f32_e32 v90, v48, v90                                // 00000001B688: 0AB4B530
	v_mul_f32_e32 v91, v48, v91                                // 00000001B68C: 0AB6B730
	v_mul_f32_e32 v92, v48, v92                                // 00000001B690: 0AB8B930
	v_mul_f32_e32 v93, v48, v93                                // 00000001B694: 0ABABB30
	v_mul_f32_e32 v94, v48, v94                                // 00000001B698: 0ABCBD30
	v_mul_f32_e32 v95, v48, v95                                // 00000001B69C: 0ABEBF30
	v_cvt_i32_f32_e32 v88, v88                                 // 00000001B6A0: 7EB01158
	v_cvt_i32_f32_e32 v89, v89                                 // 00000001B6A4: 7EB21159
	v_cvt_i32_f32_e32 v90, v90                                 // 00000001B6A8: 7EB4115A
	v_cvt_i32_f32_e32 v91, v91                                 // 00000001B6AC: 7EB6115B
	v_cvt_i32_f32_e32 v92, v92                                 // 00000001B6B0: 7EB8115C
	v_cvt_i32_f32_e32 v93, v93                                 // 00000001B6B4: 7EBA115D
	v_cvt_i32_f32_e32 v94, v94                                 // 00000001B6B8: 7EBC115E
	v_cvt_i32_f32_e32 v95, v95                                 // 00000001B6BC: 7EBE115F
	v_rcp_f32_e32 v19, v48                                     // 00000001B6C0: 7E264530
	v_perm_b32 v88, v89, v88, s53                              // 00000001B6C4: D1ED0058 00D6B159
	v_perm_b32 v88, v90, v88, s54                              // 00000001B6CC: D1ED0058 00DAB15A
	v_perm_b32 v88, v91, v88, s55                              // 00000001B6D4: D1ED0058 00DEB15B
	v_perm_b32 v89, v93, v92, s53                              // 00000001B6DC: D1ED0059 00D6B95D
	v_perm_b32 v89, v94, v89, s54                              // 00000001B6E4: D1ED0059 00DAB35E
	v_perm_b32 v89, v95, v89, s55                              // 00000001B6EC: D1ED0059 00DEB35F
	ds_write_b32 v10, v88 offset:25088                         // 00000001B6F4: D81A6200 0000580A
	ds_write_b32 v10, v89 offset:26112                         // 00000001B6FC: D81A6600 0000590A
	s_waitcnt lgkmcnt(0)                                       // 00000001B704: BF8CC07F
	s_barrier                                                  // 00000001B708: BF8A0000
	ds_read_b64 v[88:89], v9 offset:25088                      // 00000001B70C: D8EC6200 58000009
	ds_read_b64 v[90:91], v9 offset:25216                      // 00000001B714: D8EC6280 5A000009
	ds_read_b64 v[92:93], v9 offset:26112                      // 00000001B71C: D8EC6600 5C000009
	ds_read_b64 v[94:95], v9 offset:26240                      // 00000001B724: D8EC6680 5E000009
	v_mov_b32_e32 v216, 0                                      // 00000001B72C: 7FB00280
	v_mov_b32_e32 v217, 0                                      // 00000001B730: 7FB20280
	v_mov_b32_e32 v218, 0                                      // 00000001B734: 7FB40280
	v_mov_b32_e32 v219, 0                                      // 00000001B738: 7FB60280
	v_mov_b32_e32 v220, 0                                      // 00000001B73C: 7FB80280
	v_mov_b32_e32 v221, 0                                      // 00000001B740: 7FBA0280
	v_mov_b32_e32 v222, 0                                      // 00000001B744: 7FBC0280
	v_mov_b32_e32 v223, 0                                      // 00000001B748: 7FBE0280
	v_mov_b32_e32 v184, 0                                      // 00000001B74C: 7F700280
	v_mov_b32_e32 v185, 0                                      // 00000001B750: 7F720280
	v_mov_b32_e32 v186, 0                                      // 00000001B754: 7F740280
	v_mov_b32_e32 v187, 0                                      // 00000001B758: 7F760280
	v_mov_b32_e32 v188, 0                                      // 00000001B75C: 7F780280
	v_mov_b32_e32 v189, 0                                      // 00000001B760: 7F7A0280
	v_mov_b32_e32 v190, 0                                      // 00000001B764: 7F7C0280
	v_mov_b32_e32 v191, 0                                      // 00000001B768: 7F7E0280
	ds_read_b64 v[96:97], v4 offset:8448                       // 00000001B76C: D8EC2100 60000004
	ds_read_b64 v[100:101], v4 offset:8576                     // 00000001B774: D8EC2180 64000004
	s_waitcnt lgkmcnt(0)                                       // 00000001B77C: BF8CC07F
	v_and_b32_e32 v99, 0xffff0000, v97                         // 00000001B780: 26C6C2FF FFFF0000
	v_lshlrev_b32_e32 v98, 16, v97                             // 00000001B788: 24C4C290
	v_and_b32_e32 v97, 0xffff0000, v96                         // 00000001B78C: 26C2C0FF FFFF0000
	v_lshlrev_b32_e32 v96, 16, v96                             // 00000001B794: 24C0C090
	v_and_b32_e32 v103, 0xffff0000, v101                       // 00000001B798: 26CECAFF FFFF0000
	v_lshlrev_b32_e32 v102, 16, v101                           // 00000001B7A0: 24CCCA90
	v_and_b32_e32 v101, 0xffff0000, v100                       // 00000001B7A4: 26CAC8FF FFFF0000
	v_lshlrev_b32_e32 v100, 16, v100                           // 00000001B7AC: 24C8C890
	v_mov_b32_e32 v48, 0x358637bd                              // 00000001B7B0: 7E6002FF 358637BD
	v_max3_f32 v48, |v96|, |v97|, v48                          // 00000001B7B8: D1D30330 04C2C360
	v_max3_f32 v48, |v98|, |v99|, v48                          // 00000001B7C0: D1D30330 04C2C762
	v_max3_f32 v48, |v100|, |v101|, v48                        // 00000001B7C8: D1D30330 04C2CB64
	v_max3_f32 v48, |v102|, |v103|, v48                        // 00000001B7D0: D1D30330 04C2CF66
	ds_write_b32 v8, v48 offset:16896                          // 00000001B7D8: D81A4200 00003008
	s_waitcnt lgkmcnt(0)                                       // 00000001B7E0: BF8CC07F
	s_barrier                                                  // 00000001B7E4: BF8A0000
	ds_read_b32 v64, v7 offset:16896                           // 00000001B7E8: D86C4200 40000007
	ds_read_b32 v65, v7 offset:16960                           // 00000001B7F0: D86C4240 41000007
	ds_read_b32 v66, v7 offset:17024                           // 00000001B7F8: D86C4280 42000007
	ds_read_b32 v67, v7 offset:17088                           // 00000001B800: D86C42C0 43000007
	ds_read_b32 v68, v7 offset:17152                           // 00000001B808: D86C4300 44000007
	ds_read_b32 v69, v7 offset:17216                           // 00000001B810: D86C4340 45000007
	ds_read_b32 v70, v7 offset:17280                           // 00000001B818: D86C4380 46000007
	ds_read_b32 v71, v7 offset:17344                           // 00000001B820: D86C43C0 47000007
	ds_read_b32 v72, v7 offset:17408                           // 00000001B828: D86C4400 48000007
	ds_read_b32 v73, v7 offset:17472                           // 00000001B830: D86C4440 49000007
	ds_read_b32 v74, v7 offset:17536                           // 00000001B838: D86C4480 4A000007
	ds_read_b32 v75, v7 offset:17600                           // 00000001B840: D86C44C0 4B000007
	ds_read_b32 v76, v7 offset:17664                           // 00000001B848: D86C4500 4C000007
	ds_read_b32 v77, v7 offset:17728                           // 00000001B850: D86C4540 4D000007
	ds_read_b32 v78, v7 offset:17792                           // 00000001B858: D86C4580 4E000007
	ds_read_b32 v79, v7 offset:17856                           // 00000001B860: D86C45C0 4F000007
	s_waitcnt lgkmcnt(0)                                       // 00000001B868: BF8CC07F
	v_max3_f32 v48, |v64|, |v65|, v48                          // 00000001B86C: D1D30330 04C28340
	v_max3_f32 v48, |v66|, |v67|, v48                          // 00000001B874: D1D30330 04C28742
	v_max3_f32 v48, |v68|, |v69|, v48                          // 00000001B87C: D1D30330 04C28B44
	v_max3_f32 v48, |v70|, |v71|, v48                          // 00000001B884: D1D30330 04C28F46
	v_max3_f32 v48, |v72|, |v73|, v48                          // 00000001B88C: D1D30330 04C29348
	v_max3_f32 v48, |v74|, |v75|, v48                          // 00000001B894: D1D30330 04C2974A
	v_max3_f32 v48, |v76|, |v77|, v48                          // 00000001B89C: D1D30330 04C29B4C
	v_max3_f32 v48, |v78|, |v79|, v48                          // 00000001B8A4: D1D30330 04C29F4E
	v_rcp_f32_e32 v48, v48                                     // 00000001B8AC: 7E604530
	s_nop 1                                                    // 00000001B8B0: BF800001
	v_mul_f32_e32 v48, 0x42fe0000, v48                         // 00000001B8B4: 0A6060FF 42FE0000
	v_mul_f32_e32 v96, v48, v96                                // 00000001B8BC: 0AC0C130
	v_mul_f32_e32 v97, v48, v97                                // 00000001B8C0: 0AC2C330
	v_mul_f32_e32 v98, v48, v98                                // 00000001B8C4: 0AC4C530
	v_mul_f32_e32 v99, v48, v99                                // 00000001B8C8: 0AC6C730
	v_mul_f32_e32 v100, v48, v100                              // 00000001B8CC: 0AC8C930
	v_mul_f32_e32 v101, v48, v101                              // 00000001B8D0: 0ACACB30
	v_mul_f32_e32 v102, v48, v102                              // 00000001B8D4: 0ACCCD30
	v_mul_f32_e32 v103, v48, v103                              // 00000001B8D8: 0ACECF30
	v_cvt_i32_f32_e32 v96, v96                                 // 00000001B8DC: 7EC01160
	v_cvt_i32_f32_e32 v97, v97                                 // 00000001B8E0: 7EC21161
	v_cvt_i32_f32_e32 v98, v98                                 // 00000001B8E4: 7EC41162
	v_cvt_i32_f32_e32 v99, v99                                 // 00000001B8E8: 7EC61163
	v_cvt_i32_f32_e32 v100, v100                               // 00000001B8EC: 7EC81164
	v_cvt_i32_f32_e32 v101, v101                               // 00000001B8F0: 7ECA1165
	v_cvt_i32_f32_e32 v102, v102                               // 00000001B8F4: 7ECC1166
	v_cvt_i32_f32_e32 v103, v103                               // 00000001B8F8: 7ECE1167
	v_rcp_f32_e32 v20, v48                                     // 00000001B8FC: 7E284530
	v_perm_b32 v96, v97, v96, s53                              // 00000001B900: D1ED0060 00D6C161
	v_perm_b32 v96, v98, v96, s54                              // 00000001B908: D1ED0060 00DAC162
	v_perm_b32 v96, v99, v96, s55                              // 00000001B910: D1ED0060 00DEC163
	v_perm_b32 v97, v101, v100, s53                            // 00000001B918: D1ED0061 00D6C965
	v_perm_b32 v97, v102, v97, s54                             // 00000001B920: D1ED0061 00DAC366
	v_perm_b32 v97, v103, v97, s55                             // 00000001B928: D1ED0061 00DEC367
	ds_write_b32 v10, v96 offset:25088                         // 00000001B930: D81A6200 0000600A
	ds_write_b32 v10, v97 offset:26112                         // 00000001B938: D81A6600 0000610A
	s_waitcnt lgkmcnt(0)                                       // 00000001B940: BF8CC07F
	s_barrier                                                  // 00000001B944: BF8A0000
	ds_read_b64 v[96:97], v9 offset:25088                      // 00000001B948: D8EC6200 60000009
	ds_read_b64 v[98:99], v9 offset:25216                      // 00000001B950: D8EC6280 62000009
	ds_read_b64 v[100:101], v9 offset:26112                    // 00000001B958: D8EC6600 64000009
	ds_read_b64 v[102:103], v9 offset:26240                    // 00000001B960: D8EC6680 66000009
	v_mov_b32_e32 v224, 0                                      // 00000001B968: 7FC00280
	v_mov_b32_e32 v225, 0                                      // 00000001B96C: 7FC20280
	v_mov_b32_e32 v226, 0                                      // 00000001B970: 7FC40280
	v_mov_b32_e32 v227, 0                                      // 00000001B974: 7FC60280
	v_mov_b32_e32 v228, 0                                      // 00000001B978: 7FC80280
	v_mov_b32_e32 v229, 0                                      // 00000001B97C: 7FCA0280
	v_mov_b32_e32 v230, 0                                      // 00000001B980: 7FCC0280
	v_mov_b32_e32 v231, 0                                      // 00000001B984: 7FCE0280
	v_mov_b32_e32 v192, 0                                      // 00000001B988: 7F800280
	v_mov_b32_e32 v193, 0                                      // 00000001B98C: 7F820280
	v_mov_b32_e32 v194, 0                                      // 00000001B990: 7F840280
	v_mov_b32_e32 v195, 0                                      // 00000001B994: 7F860280
	v_mov_b32_e32 v196, 0                                      // 00000001B998: 7F880280
	v_mov_b32_e32 v197, 0                                      // 00000001B99C: 7F8A0280
	v_mov_b32_e32 v198, 0                                      // 00000001B9A0: 7F8C0280
	v_mov_b32_e32 v199, 0                                      // 00000001B9A4: 7F8E0280
	ds_read_b64 v[104:105], v4 offset:12672                    // 00000001B9A8: D8EC3180 68000004
	ds_read_b64 v[108:109], v4 offset:12800                    // 00000001B9B0: D8EC3200 6C000004
	s_waitcnt lgkmcnt(0)                                       // 00000001B9B8: BF8CC07F
	v_and_b32_e32 v107, 0xffff0000, v105                       // 00000001B9BC: 26D6D2FF FFFF0000
	v_lshlrev_b32_e32 v106, 16, v105                           // 00000001B9C4: 24D4D290
	v_and_b32_e32 v105, 0xffff0000, v104                       // 00000001B9C8: 26D2D0FF FFFF0000
	v_lshlrev_b32_e32 v104, 16, v104                           // 00000001B9D0: 24D0D090
	v_and_b32_e32 v111, 0xffff0000, v109                       // 00000001B9D4: 26DEDAFF FFFF0000
	v_lshlrev_b32_e32 v110, 16, v109                           // 00000001B9DC: 24DCDA90
	v_and_b32_e32 v109, 0xffff0000, v108                       // 00000001B9E0: 26DAD8FF FFFF0000
	v_lshlrev_b32_e32 v108, 16, v108                           // 00000001B9E8: 24D8D890
	v_mov_b32_e32 v48, 0x358637bd                              // 00000001B9EC: 7E6002FF 358637BD
	v_max3_f32 v48, |v104|, |v105|, v48                        // 00000001B9F4: D1D30330 04C2D368
	v_max3_f32 v48, |v106|, |v107|, v48                        // 00000001B9FC: D1D30330 04C2D76A
	v_max3_f32 v48, |v108|, |v109|, v48                        // 00000001BA04: D1D30330 04C2DB6C
	v_max3_f32 v48, |v110|, |v111|, v48                        // 00000001BA0C: D1D30330 04C2DF6E
	ds_write_b32 v8, v48 offset:16896                          // 00000001BA14: D81A4200 00003008
	s_waitcnt lgkmcnt(0)                                       // 00000001BA1C: BF8CC07F
	s_barrier                                                  // 00000001BA20: BF8A0000
	ds_read_b32 v64, v7 offset:16896                           // 00000001BA24: D86C4200 40000007
	ds_read_b32 v65, v7 offset:16960                           // 00000001BA2C: D86C4240 41000007
	ds_read_b32 v66, v7 offset:17024                           // 00000001BA34: D86C4280 42000007
	ds_read_b32 v67, v7 offset:17088                           // 00000001BA3C: D86C42C0 43000007
	ds_read_b32 v68, v7 offset:17152                           // 00000001BA44: D86C4300 44000007
	ds_read_b32 v69, v7 offset:17216                           // 00000001BA4C: D86C4340 45000007
	ds_read_b32 v70, v7 offset:17280                           // 00000001BA54: D86C4380 46000007
	ds_read_b32 v71, v7 offset:17344                           // 00000001BA5C: D86C43C0 47000007
	ds_read_b32 v72, v7 offset:17408                           // 00000001BA64: D86C4400 48000007
	ds_read_b32 v73, v7 offset:17472                           // 00000001BA6C: D86C4440 49000007
	ds_read_b32 v74, v7 offset:17536                           // 00000001BA74: D86C4480 4A000007
	ds_read_b32 v75, v7 offset:17600                           // 00000001BA7C: D86C44C0 4B000007
	ds_read_b32 v76, v7 offset:17664                           // 00000001BA84: D86C4500 4C000007
	ds_read_b32 v77, v7 offset:17728                           // 00000001BA8C: D86C4540 4D000007
	ds_read_b32 v78, v7 offset:17792                           // 00000001BA94: D86C4580 4E000007
	ds_read_b32 v79, v7 offset:17856                           // 00000001BA9C: D86C45C0 4F000007
	s_waitcnt lgkmcnt(0)                                       // 00000001BAA4: BF8CC07F
	v_max3_f32 v48, |v64|, |v65|, v48                          // 00000001BAA8: D1D30330 04C28340
	v_max3_f32 v48, |v66|, |v67|, v48                          // 00000001BAB0: D1D30330 04C28742
	v_max3_f32 v48, |v68|, |v69|, v48                          // 00000001BAB8: D1D30330 04C28B44
	v_max3_f32 v48, |v70|, |v71|, v48                          // 00000001BAC0: D1D30330 04C28F46
	v_max3_f32 v48, |v72|, |v73|, v48                          // 00000001BAC8: D1D30330 04C29348
	v_max3_f32 v48, |v74|, |v75|, v48                          // 00000001BAD0: D1D30330 04C2974A
	v_max3_f32 v48, |v76|, |v77|, v48                          // 00000001BAD8: D1D30330 04C29B4C
	v_max3_f32 v48, |v78|, |v79|, v48                          // 00000001BAE0: D1D30330 04C29F4E
	v_rcp_f32_e32 v48, v48                                     // 00000001BAE8: 7E604530
	s_nop 1                                                    // 00000001BAEC: BF800001
	v_mul_f32_e32 v48, 0x42fe0000, v48                         // 00000001BAF0: 0A6060FF 42FE0000
	v_mul_f32_e32 v104, v48, v104                              // 00000001BAF8: 0AD0D130
	v_mul_f32_e32 v105, v48, v105                              // 00000001BAFC: 0AD2D330
	v_mul_f32_e32 v106, v48, v106                              // 00000001BB00: 0AD4D530
	v_mul_f32_e32 v107, v48, v107                              // 00000001BB04: 0AD6D730
	v_mul_f32_e32 v108, v48, v108                              // 00000001BB08: 0AD8D930
	v_mul_f32_e32 v109, v48, v109                              // 00000001BB0C: 0ADADB30
	v_mul_f32_e32 v110, v48, v110                              // 00000001BB10: 0ADCDD30
	v_mul_f32_e32 v111, v48, v111                              // 00000001BB14: 0ADEDF30
	v_cvt_i32_f32_e32 v104, v104                               // 00000001BB18: 7ED01168
	v_cvt_i32_f32_e32 v105, v105                               // 00000001BB1C: 7ED21169
	v_cvt_i32_f32_e32 v106, v106                               // 00000001BB20: 7ED4116A
	v_cvt_i32_f32_e32 v107, v107                               // 00000001BB24: 7ED6116B
	v_cvt_i32_f32_e32 v108, v108                               // 00000001BB28: 7ED8116C
	v_cvt_i32_f32_e32 v109, v109                               // 00000001BB2C: 7EDA116D
	v_cvt_i32_f32_e32 v110, v110                               // 00000001BB30: 7EDC116E
	v_cvt_i32_f32_e32 v111, v111                               // 00000001BB34: 7EDE116F
	v_rcp_f32_e32 v21, v48                                     // 00000001BB38: 7E2A4530
	v_perm_b32 v104, v105, v104, s53                           // 00000001BB3C: D1ED0068 00D6D169
	v_perm_b32 v104, v106, v104, s54                           // 00000001BB44: D1ED0068 00DAD16A
	v_perm_b32 v104, v107, v104, s55                           // 00000001BB4C: D1ED0068 00DED16B
	v_perm_b32 v105, v109, v108, s53                           // 00000001BB54: D1ED0069 00D6D96D
	v_perm_b32 v105, v110, v105, s54                           // 00000001BB5C: D1ED0069 00DAD36E
	v_perm_b32 v105, v111, v105, s55                           // 00000001BB64: D1ED0069 00DED36F
	ds_write_b32 v10, v104 offset:25088                        // 00000001BB6C: D81A6200 0000680A
	ds_write_b32 v10, v105 offset:26112                        // 00000001BB74: D81A6600 0000690A
	s_waitcnt lgkmcnt(0)                                       // 00000001BB7C: BF8CC07F
	s_barrier                                                  // 00000001BB80: BF8A0000
	ds_read_b64 v[104:105], v9 offset:25088                    // 00000001BB84: D8EC6200 68000009
	ds_read_b64 v[106:107], v9 offset:25216                    // 00000001BB8C: D8EC6280 6A000009
	ds_read_b64 v[108:109], v9 offset:26112                    // 00000001BB94: D8EC6600 6C000009
	ds_read_b64 v[110:111], v9 offset:26240                    // 00000001BB9C: D8EC6680 6E000009
	v_mov_b32_e32 v232, 0                                      // 00000001BBA4: 7FD00280
	v_mov_b32_e32 v233, 0                                      // 00000001BBA8: 7FD20280
	v_mov_b32_e32 v234, 0                                      // 00000001BBAC: 7FD40280
	v_mov_b32_e32 v235, 0                                      // 00000001BBB0: 7FD60280
	v_mov_b32_e32 v236, 0                                      // 00000001BBB4: 7FD80280
	v_mov_b32_e32 v237, 0                                      // 00000001BBB8: 7FDA0280
	v_mov_b32_e32 v238, 0                                      // 00000001BBBC: 7FDC0280
	v_mov_b32_e32 v239, 0                                      // 00000001BBC0: 7FDE0280
	v_mov_b32_e32 v200, 0                                      // 00000001BBC4: 7F900280
	v_mov_b32_e32 v201, 0                                      // 00000001BBC8: 7F920280
	v_mov_b32_e32 v202, 0                                      // 00000001BBCC: 7F940280
	v_mov_b32_e32 v203, 0                                      // 00000001BBD0: 7F960280
	v_mov_b32_e32 v204, 0                                      // 00000001BBD4: 7F980280
	v_mov_b32_e32 v205, 0                                      // 00000001BBD8: 7F9A0280
	v_mov_b32_e32 v206, 0                                      // 00000001BBDC: 7F9C0280
	v_mov_b32_e32 v207, 0                                      // 00000001BBE0: 7F9E0280
	s_waitcnt vmcnt(8) lgkmcnt(0)                              // 00000001BBE4: BF8C0078
	s_barrier                                                  // 00000001BBE8: BF8A0000
	s_cmp_lt_u32 s73, 16                                       // 00000001BBEC: BF0A9049
	s_cbranch_scc1 label_8A3C                                  // 00000001BBF0: BF8523BF
	s_cmp_lt_i32 s7, 2                                         // 00000001BBF4: BF048207
	s_cbranch_scc0 label_785F                                  // 00000001BBF8: BF8411E0

000000000001bbfc <label_667F>:
	s_waitcnt vmcnt(8) lgkmcnt(0)                              // 00000001BBFC: BF8C0078
	v_mul_u32_u24_dpp v64, v17, v54 row_newbcast:0 row_mask:0xf bank_mask:0xf// 00000001BC00: 10806CFA FF015011
	v_mul_u32_u24_dpp v65, v17, v54 row_newbcast:4 row_mask:0xf bank_mask:0xf// 00000001BC08: 10826CFA FF015411
	v_mul_u32_u24_dpp v66, v17, v54 row_newbcast:8 row_mask:0xf bank_mask:0xf// 00000001BC10: 10846CFA FF015811
	v_mul_u32_u24_dpp v67, v17, v54 row_newbcast:12 row_mask:0xf bank_mask:0xf// 00000001BC18: 10866CFA FF015C11
	v_add_u32_e32 v26, v64, v5                                 // 00000001BC20: 68340B40
	v_add_u32_e32 v27, v65, v5                                 // 00000001BC24: 68360B41
	v_add_u32_e32 v28, v66, v5                                 // 00000001BC28: 68380B42
	v_add_u32_e32 v29, v67, v5                                 // 00000001BC2C: 683A0B43
	v_mul_u32_u24_dpp v64, v17, v63 quad_perm:[0,0,0,0] row_mask:0xf bank_mask:0xf// 00000001BC30: 10807EFA FF000011
	v_add_u32_e32 v3, v64, v59                                 // 00000001BC38: 68067740
	v_mul_u32_u24_dpp v64, v17, v63 quad_perm:[0,0,0,0] row_mask:0xf bank_mask:0xf// 00000001BC3C: 10807EFA FF000011
	v_add_u32_e32 v56, v64, v60                                // 00000001BC44: 68707940
	v_mfma_i32_16x16x32_i8 v[112:115], a[0:1], v[80:81], 0     // 00000001BC48: D3D70070 0A02A100
	v_mfma_i32_16x16x32_i8 v[112:115], a[2:3], v[82:83], v[112:115]// 00000001BC50: D3D70070 0DC2A502
	buffer_load_dwordx4 a[32:35], v26, s[16:19], 0 offen       // 00000001BC58: E05C1000 8084201A
	v_mfma_i32_16x16x32_i8 v[112:115], a[4:5], v[84:85], v[112:115]// 00000001BC60: D3D70070 0DC2A904
	v_mfma_i32_16x16x32_i8 v[112:115], a[6:7], v[86:87], v[112:115]// 00000001BC68: D3D70070 0DC2AD06
	buffer_load_dword v16, v1, s[24:27], 0 offen               // 00000001BC70: E0501000 80061001
	v_mfma_i32_16x16x32_i8 v[116:119], a[8:9], v[80:81], 0     // 00000001BC78: D3D70074 0A02A108
	v_mfma_i32_16x16x32_i8 v[116:119], a[10:11], v[82:83], v[116:119]// 00000001BC80: D3D70074 0DD2A50A
	buffer_load_dwordx4 a[36:39], v26, s[16:19], 0 offen offset:1024// 00000001BC88: E05C1400 8084241A
	v_mfma_i32_16x16x32_i8 v[116:119], a[12:13], v[84:85], v[116:119]// 00000001BC90: D3D70074 0DD2A90C
	v_mfma_i32_16x16x32_i8 v[116:119], a[14:15], v[86:87], v[116:119]// 00000001BC98: D3D70074 0DD2AD0E
	v_mfma_i32_16x16x32_i8 v[120:123], a[16:17], v[80:81], 0   // 00000001BCA0: D3D70078 0A02A110
	v_mfma_i32_16x16x32_i8 v[120:123], a[18:19], v[82:83], v[120:123]// 00000001BCA8: D3D70078 0DE2A512
	buffer_load_dwordx4 a[40:43], v27, s[16:19], 0 offen       // 00000001BCB0: E05C1000 8084281B
	v_mfma_i32_16x16x32_i8 v[120:123], a[20:21], v[84:85], v[120:123]// 00000001BCB8: D3D70078 0DE2A914
	v_mfma_i32_16x16x32_i8 v[120:123], a[22:23], v[86:87], v[120:123]// 00000001BCC0: D3D70078 0DE2AD16
	v_mfma_i32_16x16x32_i8 v[124:127], a[24:25], v[80:81], 0   // 00000001BCC8: D3D7007C 0A02A118
	v_mfma_i32_16x16x32_i8 v[124:127], a[26:27], v[82:83], v[124:127]// 00000001BCD0: D3D7007C 0DF2A51A
	buffer_load_dwordx4 a[44:47], v27, s[16:19], 0 offen offset:1024// 00000001BCD8: E05C1400 80842C1B
	v_mfma_i32_16x16x32_i8 v[124:127], a[28:29], v[84:85], v[124:127]// 00000001BCE0: D3D7007C 0DF2A91C
	v_mfma_i32_16x16x32_i8 v[124:127], a[30:31], v[86:87], v[124:127]// 00000001BCE8: D3D7007C 0DF2AD1E
	v_mfma_i32_16x16x32_i8 v[128:131], a[0:1], v[88:89], 0     // 00000001BCF0: D3D70080 0A02B100
	v_mfma_i32_16x16x32_i8 v[128:131], a[2:3], v[90:91], v[128:131]// 00000001BCF8: D3D70080 0E02B502
	v_mfma_i32_16x16x32_i8 v[128:131], a[4:5], v[92:93], v[128:131]// 00000001BD00: D3D70080 0E02B904
	v_mfma_i32_16x16x32_i8 v[128:131], a[6:7], v[94:95], v[128:131]// 00000001BD08: D3D70080 0E02BD06
	v_mfma_i32_16x16x32_i8 v[132:135], a[8:9], v[88:89], 0     // 00000001BD10: D3D70084 0A02B108
	v_mfma_i32_16x16x32_i8 v[132:135], a[10:11], v[90:91], v[132:135]// 00000001BD18: D3D70084 0E12B50A
	v_mfma_i32_16x16x32_i8 v[132:135], a[12:13], v[92:93], v[132:135]// 00000001BD20: D3D70084 0E12B90C
	v_mfma_i32_16x16x32_i8 v[132:135], a[14:15], v[94:95], v[132:135]// 00000001BD28: D3D70084 0E12BD0E
	v_mfma_i32_16x16x32_i8 v[136:139], a[16:17], v[88:89], 0   // 00000001BD30: D3D70088 0A02B110
	v_mfma_i32_16x16x32_i8 v[136:139], a[18:19], v[90:91], v[136:139]// 00000001BD38: D3D70088 0E22B512
	v_mfma_i32_16x16x32_i8 v[136:139], a[20:21], v[92:93], v[136:139]// 00000001BD40: D3D70088 0E22B914
	v_mfma_i32_16x16x32_i8 v[136:139], a[22:23], v[94:95], v[136:139]// 00000001BD48: D3D70088 0E22BD16
	v_mfma_i32_16x16x32_i8 v[140:143], a[24:25], v[88:89], 0   // 00000001BD50: D3D7008C 0A02B118
	v_mfma_i32_16x16x32_i8 v[140:143], a[26:27], v[90:91], v[140:143]// 00000001BD58: D3D7008C 0E32B51A
	v_mfma_i32_16x16x32_i8 v[140:143], a[28:29], v[92:93], v[140:143]// 00000001BD60: D3D7008C 0E32B91C
	v_mfma_i32_16x16x32_i8 v[140:143], a[30:31], v[94:95], v[140:143]// 00000001BD68: D3D7008C 0E32BD1E
	v_mfma_i32_16x16x32_i8 v[144:147], a[0:1], v[96:97], 0     // 00000001BD70: D3D70090 0A02C100
	v_mfma_i32_16x16x32_i8 v[144:147], a[2:3], v[98:99], v[144:147]// 00000001BD78: D3D70090 0E42C502
	v_mfma_i32_16x16x32_i8 v[144:147], a[4:5], v[100:101], v[144:147]// 00000001BD80: D3D70090 0E42C904
	v_mfma_i32_16x16x32_i8 v[144:147], a[6:7], v[102:103], v[144:147]// 00000001BD88: D3D70090 0E42CD06
	v_mfma_i32_16x16x32_i8 v[148:151], a[8:9], v[96:97], 0     // 00000001BD90: D3D70094 0A02C108
	v_mfma_i32_16x16x32_i8 v[148:151], a[10:11], v[98:99], v[148:151]// 00000001BD98: D3D70094 0E52C50A
	v_mfma_i32_16x16x32_i8 v[148:151], a[12:13], v[100:101], v[148:151]// 00000001BDA0: D3D70094 0E52C90C
	v_mfma_i32_16x16x32_i8 v[148:151], a[14:15], v[102:103], v[148:151]// 00000001BDA8: D3D70094 0E52CD0E
	v_mfma_i32_16x16x32_i8 v[152:155], a[16:17], v[96:97], 0   // 00000001BDB0: D3D70098 0A02C110
	v_mfma_i32_16x16x32_i8 v[152:155], a[18:19], v[98:99], v[152:155]// 00000001BDB8: D3D70098 0E62C512
	v_mfma_i32_16x16x32_i8 v[152:155], a[20:21], v[100:101], v[152:155]// 00000001BDC0: D3D70098 0E62C914
	v_mfma_i32_16x16x32_i8 v[152:155], a[22:23], v[102:103], v[152:155]// 00000001BDC8: D3D70098 0E62CD16
	v_mfma_i32_16x16x32_i8 v[156:159], a[24:25], v[96:97], 0   // 00000001BDD0: D3D7009C 0A02C118
	v_mfma_i32_16x16x32_i8 v[156:159], a[26:27], v[98:99], v[156:159]// 00000001BDD8: D3D7009C 0E72C51A
	v_mfma_i32_16x16x32_i8 v[156:159], a[28:29], v[100:101], v[156:159]// 00000001BDE0: D3D7009C 0E72C91C
	v_mfma_i32_16x16x32_i8 v[156:159], a[30:31], v[102:103], v[156:159]// 00000001BDE8: D3D7009C 0E72CD1E
	v_mfma_i32_16x16x32_i8 v[160:163], a[0:1], v[104:105], 0   // 00000001BDF0: D3D700A0 0A02D100
	v_mfma_i32_16x16x32_i8 v[160:163], a[2:3], v[106:107], v[160:163]// 00000001BDF8: D3D700A0 0E82D502
	v_mfma_i32_16x16x32_i8 v[160:163], a[4:5], v[108:109], v[160:163]// 00000001BE00: D3D700A0 0E82D904
	v_mfma_i32_16x16x32_i8 v[160:163], a[6:7], v[110:111], v[160:163]// 00000001BE08: D3D700A0 0E82DD06
	v_mfma_i32_16x16x32_i8 v[164:167], a[8:9], v[104:105], 0   // 00000001BE10: D3D700A4 0A02D108
	v_mfma_i32_16x16x32_i8 v[164:167], a[10:11], v[106:107], v[164:167]// 00000001BE18: D3D700A4 0E92D50A
	v_mfma_i32_16x16x32_i8 v[164:167], a[12:13], v[108:109], v[164:167]// 00000001BE20: D3D700A4 0E92D90C
	v_mfma_i32_16x16x32_i8 v[164:167], a[14:15], v[110:111], v[164:167]// 00000001BE28: D3D700A4 0E92DD0E
	v_mfma_i32_16x16x32_i8 v[168:171], a[16:17], v[104:105], 0 // 00000001BE30: D3D700A8 0A02D110
	v_mfma_i32_16x16x32_i8 v[168:171], a[18:19], v[106:107], v[168:171]// 00000001BE38: D3D700A8 0EA2D512
	v_mfma_i32_16x16x32_i8 v[168:171], a[20:21], v[108:109], v[168:171]// 00000001BE40: D3D700A8 0EA2D914
	v_mfma_i32_16x16x32_i8 v[168:171], a[22:23], v[110:111], v[168:171]// 00000001BE48: D3D700A8 0EA2DD16
	v_mfma_i32_16x16x32_i8 v[172:175], a[24:25], v[104:105], 0 // 00000001BE50: D3D700AC 0A02D118
	v_mfma_i32_16x16x32_i8 v[172:175], a[26:27], v[106:107], v[172:175]// 00000001BE58: D3D700AC 0EB2D51A
	v_mfma_i32_16x16x32_i8 v[172:175], a[28:29], v[108:109], v[172:175]// 00000001BE60: D3D700AC 0EB2D91C
	v_mfma_i32_16x16x32_i8 v[172:175], a[30:31], v[110:111], v[172:175]// 00000001BE68: D3D700AC 0EB2DD1E
	buffer_load_dword v43, v3, s[32:35], 0 offen               // 00000001BE70: E0501000 80082B03
	v_mov_b32_dpp v64, v42 row_shr:4 row_mask:0xf bank_mask:0xf// 00000001BE78: 7E8002FA FF01142A
	v_mov_b32_dpp v65, v42 row_shl:4 row_mask:0xf bank_mask:0xf// 00000001BE80: 7E8202FA FF01042A
	v_cndmask_b32_e64 v248, v42, v64, s[44:45]                 // 00000001BE88: D10000F8 00B2812A
	v_cndmask_b32_e64 v249, v65, v42, s[44:45]                 // 00000001BE90: D10000F9 00B25541
	v_mov_b32_dpp v64, v248 row_shr:8 row_mask:0xf bank_mask:0xf// 00000001BE98: 7E8002FA FF0118F8
	v_mov_b32_dpp v65, v248 row_shl:8 row_mask:0xf bank_mask:0xf// 00000001BEA0: 7E8202FA FF0108F8
	v_mov_b32_dpp v66, v249 row_shr:8 row_mask:0xf bank_mask:0xf// 00000001BEA8: 7E8402FA FF0118F9
	v_mov_b32_dpp v67, v249 row_shl:8 row_mask:0xf bank_mask:0xf// 00000001BEB0: 7E8602FA FF0108F9
	v_mov_b32_e32 v68, v248                                    // 00000001BEB8: 7E8803F8
	v_mov_b32_e32 v69, v249                                    // 00000001BEBC: 7E8A03F9
	v_cndmask_b32_e64 v248, v68, v64, s[42:43]                 // 00000001BEC0: D10000F8 00AA8144
	v_cndmask_b32_e64 v250, v68, v65, s[78:79]                 // 00000001BEC8: D10000FA 013A8344
	v_cndmask_b32_e64 v249, v69, v66, s[42:43]                 // 00000001BED0: D10000F9 00AA8545
	v_cndmask_b32_e64 v251, v69, v67, s[78:79]                 // 00000001BED8: D10000FB 013A8745
	v_mov_b32_dpp v64, v57 row_shr:4 row_mask:0xf bank_mask:0xf// 00000001BEE0: 7E8002FA FF011439
	v_mov_b32_dpp v65, v57 row_shl:4 row_mask:0xf bank_mask:0xf// 00000001BEE8: 7E8202FA FF010439
	v_cndmask_b32_e64 v252, v57, v64, s[44:45]                 // 00000001BEF0: D10000FC 00B28139
	v_cndmask_b32_e64 v253, v65, v57, s[44:45]                 // 00000001BEF8: D10000FD 00B27341
	v_mov_b32_dpp v64, v252 row_shr:8 row_mask:0xf bank_mask:0xf// 00000001BF00: 7E8002FA FF0118FC
	v_mov_b32_dpp v65, v252 row_shl:8 row_mask:0xf bank_mask:0xf// 00000001BF08: 7E8202FA FF0108FC
	v_mov_b32_dpp v66, v253 row_shr:8 row_mask:0xf bank_mask:0xf// 00000001BF10: 7E8402FA FF0118FD
	v_mov_b32_dpp v67, v253 row_shl:8 row_mask:0xf bank_mask:0xf// 00000001BF18: 7E8602FA FF0108FD
	v_mov_b32_e32 v68, v252                                    // 00000001BF20: 7E8803FC
	v_mov_b32_e32 v69, v253                                    // 00000001BF24: 7E8A03FD
	v_cndmask_b32_e64 v252, v68, v64, s[42:43]                 // 00000001BF28: D10000FC 00AA8144
	v_cndmask_b32_e64 v254, v68, v65, s[78:79]                 // 00000001BF30: D10000FE 013A8344
	v_cndmask_b32_e64 v253, v69, v66, s[42:43]                 // 00000001BF38: D10000FD 00AA8545
	v_cndmask_b32_e64 v255, v69, v67, s[78:79]                 // 00000001BF40: D10000FF 013A8745
	buffer_load_dword v58, v56, s[36:39], 0 offen              // 00000001BF48: E0501000 80093A38
	v_cvt_f32_i32_e32 v112, v112                               // 00000001BF50: 7EE00B70
	v_cvt_f32_i32_e32 v113, v113                               // 00000001BF54: 7EE20B71
	v_cvt_f32_i32_e32 v114, v114                               // 00000001BF58: 7EE40B72
	v_cvt_f32_i32_e32 v115, v115                               // 00000001BF5C: 7EE60B73
	v_cvt_f32_i32_e32 v116, v116                               // 00000001BF60: 7EE80B74
	v_cvt_f32_i32_e32 v117, v117                               // 00000001BF64: 7EEA0B75
	v_cvt_f32_i32_e32 v118, v118                               // 00000001BF68: 7EEC0B76
	v_cvt_f32_i32_e32 v119, v119                               // 00000001BF6C: 7EEE0B77
	v_cvt_f32_i32_e32 v120, v120                               // 00000001BF70: 7EF00B78
	v_cvt_f32_i32_e32 v121, v121                               // 00000001BF74: 7EF20B79
	v_cvt_f32_i32_e32 v122, v122                               // 00000001BF78: 7EF40B7A
	v_cvt_f32_i32_e32 v123, v123                               // 00000001BF7C: 7EF60B7B
	v_cvt_f32_i32_e32 v124, v124                               // 00000001BF80: 7EF80B7C
	v_cvt_f32_i32_e32 v125, v125                               // 00000001BF84: 7EFA0B7D
	v_cvt_f32_i32_e32 v126, v126                               // 00000001BF88: 7EFC0B7E
	v_cvt_f32_i32_e32 v127, v127                               // 00000001BF8C: 7EFE0B7F
	v_mul_f32_e32 v112, v18, v112                              // 00000001BF90: 0AE0E112
	v_mul_f32_e32 v113, v18, v113                              // 00000001BF94: 0AE2E312
	v_mul_f32_e32 v114, v18, v114                              // 00000001BF98: 0AE4E512
	v_mul_f32_e32 v115, v18, v115                              // 00000001BF9C: 0AE6E712
	v_mul_f32_e32 v116, v18, v116                              // 00000001BFA0: 0AE8E912
	v_mul_f32_e32 v117, v18, v117                              // 00000001BFA4: 0AEAEB12
	v_mul_f32_e32 v118, v18, v118                              // 00000001BFA8: 0AECED12
	v_mul_f32_e32 v119, v18, v119                              // 00000001BFAC: 0AEEEF12
	v_mul_f32_e32 v120, v18, v120                              // 00000001BFB0: 0AF0F112
	v_mul_f32_e32 v121, v18, v121                              // 00000001BFB4: 0AF2F312
	v_mul_f32_e32 v122, v18, v122                              // 00000001BFB8: 0AF4F512
	v_mul_f32_e32 v123, v18, v123                              // 00000001BFBC: 0AF6F712
	v_mul_f32_e32 v124, v18, v124                              // 00000001BFC0: 0AF8F912
	v_mul_f32_e32 v125, v18, v125                              // 00000001BFC4: 0AFAFB12
	v_mul_f32_e32 v126, v18, v126                              // 00000001BFC8: 0AFCFD12
	v_mul_f32_e32 v127, v18, v127                              // 00000001BFCC: 0AFEFF12
	buffer_load_dwordx4 a[48:51], v28, s[16:19], 0 offen       // 00000001BFD0: E05C1000 8084301C
	v_mul_f32_dpp v112, v248, v112 quad_perm:[0,0,0,0] row_mask:0xf bank_mask:0xf// 00000001BFD8: 0AE0E0FA FF0000F8
	v_mul_f32_dpp v113, v248, v113 quad_perm:[1,1,1,1] row_mask:0xf bank_mask:0xf// 00000001BFE0: 0AE2E2FA FF0055F8
	v_mul_f32_dpp v114, v248, v114 quad_perm:[2,2,2,2] row_mask:0xf bank_mask:0xf// 00000001BFE8: 0AE4E4FA FF00AAF8
	v_mul_f32_dpp v115, v248, v115 quad_perm:[3,3,3,3] row_mask:0xf bank_mask:0xf// 00000001BFF0: 0AE6E6FA FF00FFF8
	v_mul_f32_dpp v116, v249, v116 quad_perm:[0,0,0,0] row_mask:0xf bank_mask:0xf// 00000001BFF8: 0AE8E8FA FF0000F9
	v_mul_f32_dpp v117, v249, v117 quad_perm:[1,1,1,1] row_mask:0xf bank_mask:0xf// 00000001C000: 0AEAEAFA FF0055F9
	v_mul_f32_dpp v118, v249, v118 quad_perm:[2,2,2,2] row_mask:0xf bank_mask:0xf// 00000001C008: 0AECECFA FF00AAF9
	v_mul_f32_dpp v119, v249, v119 quad_perm:[3,3,3,3] row_mask:0xf bank_mask:0xf// 00000001C010: 0AEEEEFA FF00FFF9
	v_mul_f32_dpp v120, v250, v120 quad_perm:[0,0,0,0] row_mask:0xf bank_mask:0xf// 00000001C018: 0AF0F0FA FF0000FA
	v_mul_f32_dpp v121, v250, v121 quad_perm:[1,1,1,1] row_mask:0xf bank_mask:0xf// 00000001C020: 0AF2F2FA FF0055FA
	v_mul_f32_dpp v122, v250, v122 quad_perm:[2,2,2,2] row_mask:0xf bank_mask:0xf// 00000001C028: 0AF4F4FA FF00AAFA
	v_mul_f32_dpp v123, v250, v123 quad_perm:[3,3,3,3] row_mask:0xf bank_mask:0xf// 00000001C030: 0AF6F6FA FF00FFFA
	v_mul_f32_dpp v124, v251, v124 quad_perm:[0,0,0,0] row_mask:0xf bank_mask:0xf// 00000001C038: 0AF8F8FA FF0000FB
	v_mul_f32_dpp v125, v251, v125 quad_perm:[1,1,1,1] row_mask:0xf bank_mask:0xf// 00000001C040: 0AFAFAFA FF0055FB
	v_mul_f32_dpp v126, v251, v126 quad_perm:[2,2,2,2] row_mask:0xf bank_mask:0xf// 00000001C048: 0AFCFCFA FF00AAFB
	v_mul_f32_dpp v127, v251, v127 quad_perm:[3,3,3,3] row_mask:0xf bank_mask:0xf// 00000001C050: 0AFEFEFA FF00FFFB
	buffer_load_dwordx4 a[52:55], v28, s[16:19], 0 offen offset:1024// 00000001C058: E05C1400 8084341C
	v_mov_b32_e32 v48, v112                                    // 00000001C060: 7E600370
	v_max3_f32 v48, v112, v113, v48                            // 00000001C064: D1D30030 04C2E370
	v_max3_f32 v48, v114, v115, v48                            // 00000001C06C: D1D30030 04C2E772
	v_max3_f32 v48, v116, v117, v48                            // 00000001C074: D1D30030 04C2EB74
	v_max3_f32 v48, v118, v119, v48                            // 00000001C07C: D1D30030 04C2EF76
	v_max3_f32 v48, v120, v121, v48                            // 00000001C084: D1D30030 04C2F378
	v_max3_f32 v48, v122, v123, v48                            // 00000001C08C: D1D30030 04C2F77A
	v_max3_f32 v48, v124, v125, v48                            // 00000001C094: D1D30030 04C2FB7C
	v_max3_f32 v48, v126, v127, v48                            // 00000001C09C: D1D30030 04C2FF7E
	ds_write_b32 v8, v48 offset:16896                          // 00000001C0A4: D81A4200 00003008
	buffer_load_dwordx4 a[56:59], v29, s[16:19], 0 offen       // 00000001C0AC: E05C1000 8084381D
	v_mul_u32_u24_dpp v64, v17, v54 row_newbcast:1 row_mask:0xf bank_mask:0xf// 00000001C0B4: 10806CFA FF015111
	v_mul_u32_u24_dpp v65, v17, v54 row_newbcast:5 row_mask:0xf bank_mask:0xf// 00000001C0BC: 10826CFA FF015511
	v_mul_u32_u24_dpp v66, v17, v54 row_newbcast:9 row_mask:0xf bank_mask:0xf// 00000001C0C4: 10846CFA FF015911
	v_mul_u32_u24_dpp v67, v17, v54 row_newbcast:13 row_mask:0xf bank_mask:0xf// 00000001C0CC: 10866CFA FF015D11
	v_add_u32_e32 v34, v64, v6                                 // 00000001C0D4: 68440D40
	v_add_u32_e32 v35, v65, v6                                 // 00000001C0D8: 68460D41
	v_add_u32_e32 v36, v66, v6                                 // 00000001C0DC: 68480D42
	v_add_u32_e32 v37, v67, v6                                 // 00000001C0E0: 684A0D43
	v_mul_f32_e32 v208, v49, v208                              // 00000001C0E4: 0BA1A131
	v_mul_f32_e32 v209, v49, v209                              // 00000001C0E8: 0BA3A331
	v_mul_f32_e32 v210, v49, v210                              // 00000001C0EC: 0BA5A531
	v_mul_f32_e32 v211, v49, v211                              // 00000001C0F0: 0BA7A731
	v_mul_f32_e32 v212, v49, v212                              // 00000001C0F4: 0BA9A931
	v_mul_f32_e32 v213, v49, v213                              // 00000001C0F8: 0BABAB31
	v_mul_f32_e32 v214, v49, v214                              // 00000001C0FC: 0BADAD31
	v_mul_f32_e32 v215, v49, v215                              // 00000001C100: 0BAFAF31
	s_waitcnt lgkmcnt(0)                                       // 00000001C104: BF8CC07F
	s_barrier                                                  // 00000001C108: BF8A0000
	ds_read_b32 v64, v7 offset:16896                           // 00000001C10C: D86C4200 40000007
	ds_read_b32 v65, v7 offset:16960                           // 00000001C114: D86C4240 41000007
	ds_read_b32 v66, v7 offset:17024                           // 00000001C11C: D86C4280 42000007
	ds_read_b32 v67, v7 offset:17088                           // 00000001C124: D86C42C0 43000007
	ds_read_b32 v68, v7 offset:17152                           // 00000001C12C: D86C4300 44000007
	ds_read_b32 v69, v7 offset:17216                           // 00000001C134: D86C4340 45000007
	ds_read_b32 v70, v7 offset:17280                           // 00000001C13C: D86C4380 46000007
	ds_read_b32 v71, v7 offset:17344                           // 00000001C144: D86C43C0 47000007
	ds_read_b32 v72, v7 offset:17408                           // 00000001C14C: D86C4400 48000007
	ds_read_b32 v73, v7 offset:17472                           // 00000001C154: D86C4440 49000007
	ds_read_b32 v74, v7 offset:17536                           // 00000001C15C: D86C4480 4A000007
	ds_read_b32 v75, v7 offset:17600                           // 00000001C164: D86C44C0 4B000007
	ds_read_b32 v76, v7 offset:17664                           // 00000001C16C: D86C4500 4C000007
	ds_read_b32 v77, v7 offset:17728                           // 00000001C174: D86C4540 4D000007
	ds_read_b32 v78, v7 offset:17792                           // 00000001C17C: D86C4580 4E000007
	ds_read_b32 v79, v7 offset:17856                           // 00000001C184: D86C45C0 4F000007
	buffer_load_dwordx4 a[60:63], v29, s[16:19], 0 offen offset:1024// 00000001C18C: E05C1400 80843C1D
	v_cvt_f32_i32_e32 v176, v176                               // 00000001C194: 7F600BB0
	v_cvt_f32_i32_e32 v177, v177                               // 00000001C198: 7F620BB1
	v_cvt_f32_i32_e32 v178, v178                               // 00000001C19C: 7F640BB2
	v_cvt_f32_i32_e32 v179, v179                               // 00000001C1A0: 7F660BB3
	v_cvt_f32_i32_e32 v180, v180                               // 00000001C1A4: 7F680BB4
	v_cvt_f32_i32_e32 v181, v181                               // 00000001C1A8: 7F6A0BB5
	v_cvt_f32_i32_e32 v182, v182                               // 00000001C1AC: 7F6C0BB6
	v_cvt_f32_i32_e32 v183, v183                               // 00000001C1B0: 7F6E0BB7
	v_mul_f32_e32 v176, v44, v176                              // 00000001C1B4: 0B61612C
	v_mul_f32_e32 v177, v44, v177                              // 00000001C1B8: 0B63632C
	v_mul_f32_e32 v178, v44, v178                              // 00000001C1BC: 0B65652C
	v_mul_f32_e32 v179, v44, v179                              // 00000001C1C0: 0B67672C
	v_mul_f32_e32 v180, v44, v180                              // 00000001C1C4: 0B69692C
	v_mul_f32_e32 v181, v44, v181                              // 00000001C1C8: 0B6B6B2C
	v_mul_f32_e32 v182, v44, v182                              // 00000001C1CC: 0B6D6D2C
	v_mul_f32_e32 v183, v44, v183                              // 00000001C1D0: 0B6F6F2C
	s_waitcnt lgkmcnt(0)                                       // 00000001C1D4: BF8CC07F
	v_max3_f32 v48, v64, v65, v48                              // 00000001C1D8: D1D30030 04C28340
	v_max3_f32 v48, v66, v67, v48                              // 00000001C1E0: D1D30030 04C28742
	v_max3_f32 v48, v68, v69, v48                              // 00000001C1E8: D1D30030 04C28B44
	v_max3_f32 v48, v70, v71, v48                              // 00000001C1F0: D1D30030 04C28F46
	v_max3_f32 v48, v72, v73, v48                              // 00000001C1F8: D1D30030 04C29348
	v_max3_f32 v48, v74, v75, v48                              // 00000001C200: D1D30030 04C2974A
	v_max3_f32 v48, v76, v77, v48                              // 00000001C208: D1D30030 04C29B4C
	v_max3_f32 v48, v78, v79, v48                              // 00000001C210: D1D30030 04C29F4E
	buffer_load_dwordx4 a[96:99], v34, s[20:23], 0 offen       // 00000001C218: E05C1000 80856022
	v_mov_b32_e32 v64, 0xff800000                              // 00000001C220: 7E8002FF FF800000
	v_cmp_eq_u32_e64 s[40:41], v64, v11                        // 00000001C228: D0CA0028 00021740
	s_nop 1                                                    // 00000001C230: BF800001
	v_max_f32_e32 v15, v48, v11                                // 00000001C234: 161E1730
	v_mul_f32_e32 v53, s64, v15                                // 00000001C238: 0A6A1E40
	v_fma_f32 v112, v112, s64, -v53                            // 00000001C23C: D1CB0070 84D48170
	v_fma_f32 v113, v113, s64, -v53                            // 00000001C244: D1CB0071 84D48171
	v_fma_f32 v114, v114, s64, -v53                            // 00000001C24C: D1CB0072 84D48172
	v_fma_f32 v115, v115, s64, -v53                            // 00000001C254: D1CB0073 84D48173
	v_fma_f32 v116, v116, s64, -v53                            // 00000001C25C: D1CB0074 84D48174
	v_fma_f32 v117, v117, s64, -v53                            // 00000001C264: D1CB0075 84D48175
	v_fma_f32 v118, v118, s64, -v53                            // 00000001C26C: D1CB0076 84D48176
	v_fma_f32 v119, v119, s64, -v53                            // 00000001C274: D1CB0077 84D48177
	v_fma_f32 v120, v120, s64, -v53                            // 00000001C27C: D1CB0078 84D48178
	v_fma_f32 v121, v121, s64, -v53                            // 00000001C284: D1CB0079 84D48179
	v_fma_f32 v122, v122, s64, -v53                            // 00000001C28C: D1CB007A 84D4817A
	v_fma_f32 v123, v123, s64, -v53                            // 00000001C294: D1CB007B 84D4817B
	v_fma_f32 v124, v124, s64, -v53                            // 00000001C29C: D1CB007C 84D4817C
	v_fma_f32 v125, v125, s64, -v53                            // 00000001C2A4: D1CB007D 84D4817D
	v_fma_f32 v126, v126, s64, -v53                            // 00000001C2AC: D1CB007E 84D4817E
	v_fma_f32 v127, v127, s64, -v53                            // 00000001C2B4: D1CB007F 84D4817F
	buffer_load_dwordx4 a[100:103], v35, s[20:23], 0 offen     // 00000001C2BC: E05C1000 80856423
	v_exp_f32_e32 v112, v112                                   // 00000001C2C4: 7EE04170
	v_exp_f32_e32 v113, v113                                   // 00000001C2C8: 7EE24171
	v_exp_f32_e32 v114, v114                                   // 00000001C2CC: 7EE44172
	v_exp_f32_e32 v115, v115                                   // 00000001C2D0: 7EE64173
	v_exp_f32_e32 v116, v116                                   // 00000001C2D4: 7EE84174
	v_exp_f32_e32 v117, v117                                   // 00000001C2D8: 7EEA4175
	v_exp_f32_e32 v118, v118                                   // 00000001C2DC: 7EEC4176
	v_exp_f32_e32 v119, v119                                   // 00000001C2E0: 7EEE4177
	v_exp_f32_e32 v120, v120                                   // 00000001C2E4: 7EF04178
	v_exp_f32_e32 v121, v121                                   // 00000001C2E8: 7EF24179
	v_exp_f32_e32 v122, v122                                   // 00000001C2EC: 7EF4417A
	v_exp_f32_e32 v123, v123                                   // 00000001C2F0: 7EF6417B
	v_exp_f32_e32 v124, v124                                   // 00000001C2F4: 7EF8417C
	v_exp_f32_e32 v125, v125                                   // 00000001C2F8: 7EFA417D
	v_exp_f32_e32 v126, v126                                   // 00000001C2FC: 7EFC417E
	v_exp_f32_e32 v127, v127                                   // 00000001C300: 7EFE417F
	buffer_load_dwordx4 a[104:107], v36, s[20:23], 0 offen     // 00000001C304: E05C1000 80856824
	v_mul_f32_dpp v240, v252, v112 quad_perm:[0,0,0,0] row_mask:0xf bank_mask:0xf// 00000001C30C: 0BE0E0FA FF0000FC
	v_mul_f32_dpp v241, v252, v113 quad_perm:[1,1,1,1] row_mask:0xf bank_mask:0xf// 00000001C314: 0BE2E2FA FF0055FC
	v_mul_f32_dpp v242, v252, v114 quad_perm:[2,2,2,2] row_mask:0xf bank_mask:0xf// 00000001C31C: 0BE4E4FA FF00AAFC
	v_mul_f32_dpp v243, v252, v115 quad_perm:[3,3,3,3] row_mask:0xf bank_mask:0xf// 00000001C324: 0BE6E6FA FF00FFFC
	v_mul_f32_dpp v244, v253, v116 quad_perm:[0,0,0,0] row_mask:0xf bank_mask:0xf// 00000001C32C: 0BE8E8FA FF0000FD
	v_mul_f32_dpp v245, v253, v117 quad_perm:[1,1,1,1] row_mask:0xf bank_mask:0xf// 00000001C334: 0BEAEAFA FF0055FD
	v_mul_f32_dpp v246, v253, v118 quad_perm:[2,2,2,2] row_mask:0xf bank_mask:0xf// 00000001C33C: 0BECECFA FF00AAFD
	v_mul_f32_dpp v247, v253, v119 quad_perm:[3,3,3,3] row_mask:0xf bank_mask:0xf// 00000001C344: 0BEEEEFA FF00FFFD
	v_mul_f32_dpp v248, v254, v120 quad_perm:[0,0,0,0] row_mask:0xf bank_mask:0xf// 00000001C34C: 0BF0F0FA FF0000FE
	v_mul_f32_dpp v249, v254, v121 quad_perm:[1,1,1,1] row_mask:0xf bank_mask:0xf// 00000001C354: 0BF2F2FA FF0055FE
	v_mul_f32_dpp v250, v254, v122 quad_perm:[2,2,2,2] row_mask:0xf bank_mask:0xf// 00000001C35C: 0BF4F4FA FF00AAFE
	v_mul_f32_dpp v251, v254, v123 quad_perm:[3,3,3,3] row_mask:0xf bank_mask:0xf// 00000001C364: 0BF6F6FA FF00FFFE
	v_mul_f32_dpp v252, v255, v124 quad_perm:[0,0,0,0] row_mask:0xf bank_mask:0xf// 00000001C36C: 0BF8F8FA FF0000FF
	v_mul_f32_dpp v253, v255, v125 quad_perm:[1,1,1,1] row_mask:0xf bank_mask:0xf// 00000001C374: 0BFAFAFA FF0055FF
	v_mul_f32_dpp v254, v255, v126 quad_perm:[2,2,2,2] row_mask:0xf bank_mask:0xf// 00000001C37C: 0BFCFCFA FF00AAFF
	v_mul_f32_dpp v255, v255, v127 quad_perm:[3,3,3,3] row_mask:0xf bank_mask:0xf// 00000001C384: 0BFEFEFA FF00FFFF
	v_mov_b32_e32 v48, 0x358637bd                              // 00000001C38C: 7E6002FF 358637BD
	v_max3_f32 v48, |v240|, |v241|, v48                        // 00000001C394: D1D30330 04C3E3F0
	v_max3_f32 v48, |v242|, |v243|, v48                        // 00000001C39C: D1D30330 04C3E7F2
	v_max3_f32 v48, |v244|, |v245|, v48                        // 00000001C3A4: D1D30330 04C3EBF4
	v_max3_f32 v48, |v246|, |v247|, v48                        // 00000001C3AC: D1D30330 04C3EFF6
	v_max3_f32 v48, |v248|, |v249|, v48                        // 00000001C3B4: D1D30330 04C3F3F8
	v_max3_f32 v48, |v250|, |v251|, v48                        // 00000001C3BC: D1D30330 04C3F7FA
	v_max3_f32 v48, |v252|, |v253|, v48                        // 00000001C3C4: D1D30330 04C3FBFC
	v_max3_f32 v48, |v254|, |v255|, v48                        // 00000001C3CC: D1D30330 04C3FFFE
	buffer_load_dwordx4 a[108:111], v37, s[20:23], 0 offen     // 00000001C3D4: E05C1000 80856C25
	ds_write_b32 v8, v48 offset:20992                          // 00000001C3DC: D81A5200 00003008
	v_sub_f32_e32 v49, v11, v15                                // 00000001C3E4: 04621F0B
	v_cndmask_b32_e64 v49, v49, 0, s[40:41]                    // 00000001C3E8: D1000031 00A10131
	v_mov_b32_e32 v11, v15                                     // 00000001C3F0: 7E16030F
	v_mul_f32_e32 v49, s64, v49                                // 00000001C3F4: 0A626240
	v_exp_f32_e32 v49, v49                                     // 00000001C3F8: 7E624131
	s_waitcnt lgkmcnt(0)                                       // 00000001C3FC: BF8CC07F
	s_barrier                                                  // 00000001C400: BF8A0000
	ds_read_b32 v64, v7 offset:20992                           // 00000001C404: D86C5200 40000007
	ds_read_b32 v65, v7 offset:21056                           // 00000001C40C: D86C5240 41000007
	ds_read_b32 v66, v7 offset:21120                           // 00000001C414: D86C5280 42000007
	ds_read_b32 v67, v7 offset:21184                           // 00000001C41C: D86C52C0 43000007
	ds_read_b32 v68, v7 offset:21248                           // 00000001C424: D86C5300 44000007
	ds_read_b32 v69, v7 offset:21312                           // 00000001C42C: D86C5340 45000007
	ds_read_b32 v70, v7 offset:21376                           // 00000001C434: D86C5380 46000007
	ds_read_b32 v71, v7 offset:21440                           // 00000001C43C: D86C53C0 47000007
	ds_read_b32 v72, v7 offset:21504                           // 00000001C444: D86C5400 48000007
	ds_read_b32 v73, v7 offset:21568                           // 00000001C44C: D86C5440 49000007
	ds_read_b32 v74, v7 offset:21632                           // 00000001C454: D86C5480 4A000007
	ds_read_b32 v75, v7 offset:21696                           // 00000001C45C: D86C54C0 4B000007
	ds_read_b32 v76, v7 offset:21760                           // 00000001C464: D86C5500 4C000007
	ds_read_b32 v77, v7 offset:21824                           // 00000001C46C: D86C5540 4D000007
	ds_read_b32 v78, v7 offset:21888                           // 00000001C474: D86C5580 4E000007
	ds_read_b32 v79, v7 offset:21952                           // 00000001C47C: D86C55C0 4F000007
	v_mul_f32_e32 v38, v49, v38                                // 00000001C484: 0A4C4D31
	v_mov_b32_e32 v15, v112                                    // 00000001C488: 7E1E0370
	v_add_f32_e32 v15, v113, v15                               // 00000001C48C: 021E1F71
	v_add_f32_e32 v15, v114, v15                               // 00000001C490: 021E1F72
	v_add_f32_e32 v15, v115, v15                               // 00000001C494: 021E1F73
	v_add_f32_e32 v15, v116, v15                               // 00000001C498: 021E1F74
	v_add_f32_e32 v15, v117, v15                               // 00000001C49C: 021E1F75
	v_add_f32_e32 v15, v118, v15                               // 00000001C4A0: 021E1F76
	v_add_f32_e32 v15, v119, v15                               // 00000001C4A4: 021E1F77
	v_add_f32_e32 v15, v120, v15                               // 00000001C4A8: 021E1F78
	v_add_f32_e32 v15, v121, v15                               // 00000001C4AC: 021E1F79
	v_add_f32_e32 v15, v122, v15                               // 00000001C4B0: 021E1F7A
	v_add_f32_e32 v15, v123, v15                               // 00000001C4B4: 021E1F7B
	v_add_f32_e32 v15, v124, v15                               // 00000001C4B8: 021E1F7C
	v_add_f32_e32 v15, v125, v15                               // 00000001C4BC: 021E1F7D
	v_add_f32_e32 v15, v126, v15                               // 00000001C4C0: 021E1F7E
	v_add_f32_e32 v15, v127, v15                               // 00000001C4C4: 021E1F7F
	v_add_f32_e32 v38, v15, v38                                // 00000001C4C8: 024C4D0F
	s_waitcnt lgkmcnt(0)                                       // 00000001C4CC: BF8CC07F
	v_max3_f32 v48, |v64|, |v65|, v48                          // 00000001C4D0: D1D30330 04C28340
	v_max3_f32 v48, |v66|, |v67|, v48                          // 00000001C4D8: D1D30330 04C28742
	v_max3_f32 v48, |v68|, |v69|, v48                          // 00000001C4E0: D1D30330 04C28B44
	v_max3_f32 v48, |v70|, |v71|, v48                          // 00000001C4E8: D1D30330 04C28F46
	v_max3_f32 v48, |v72|, |v73|, v48                          // 00000001C4F0: D1D30330 04C29348
	v_max3_f32 v48, |v74|, |v75|, v48                          // 00000001C4F8: D1D30330 04C2974A
	v_max3_f32 v48, |v76|, |v77|, v48                          // 00000001C500: D1D30330 04C29B4C
	v_max3_f32 v48, |v78|, |v79|, v48                          // 00000001C508: D1D30330 04C29F4E
	s_nop 2                                                    // 00000001C510: BF800002
	v_rcp_f32_e32 v48, v48                                     // 00000001C514: 7E604530
	s_nop 1                                                    // 00000001C518: BF800001
	v_mul_f32_e32 v48, 0x42fe0000, v48                         // 00000001C51C: 0A6060FF 42FE0000
	v_mul_f32_e32 v112, v48, v240                              // 00000001C524: 0AE1E130
	v_mul_f32_e32 v113, v48, v241                              // 00000001C528: 0AE3E330
	v_mul_f32_e32 v114, v48, v242                              // 00000001C52C: 0AE5E530
	v_mul_f32_e32 v115, v48, v243                              // 00000001C530: 0AE7E730
	v_mul_f32_e32 v116, v48, v244                              // 00000001C534: 0AE9E930
	v_mul_f32_e32 v117, v48, v245                              // 00000001C538: 0AEBEB30
	v_mul_f32_e32 v118, v48, v246                              // 00000001C53C: 0AEDED30
	v_mul_f32_e32 v119, v48, v247                              // 00000001C540: 0AEFEF30
	v_mul_f32_e32 v120, v48, v248                              // 00000001C544: 0AF1F130
	v_mul_f32_e32 v121, v48, v249                              // 00000001C548: 0AF3F330
	v_mul_f32_e32 v122, v48, v250                              // 00000001C54C: 0AF5F530
	v_mul_f32_e32 v123, v48, v251                              // 00000001C550: 0AF7F730
	v_mul_f32_e32 v124, v48, v252                              // 00000001C554: 0AF9F930
	v_mul_f32_e32 v125, v48, v253                              // 00000001C558: 0AFBFB30
	v_mul_f32_e32 v126, v48, v254                              // 00000001C55C: 0AFDFD30
	v_mul_f32_e32 v127, v48, v255                              // 00000001C560: 0AFFFF30
	v_cvt_i32_f32_e32 v112, v112                               // 00000001C564: 7EE01170
	v_cvt_i32_f32_e32 v113, v113                               // 00000001C568: 7EE21171
	v_cvt_i32_f32_e32 v114, v114                               // 00000001C56C: 7EE41172
	v_cvt_i32_f32_e32 v115, v115                               // 00000001C570: 7EE61173
	v_cvt_i32_f32_e32 v116, v116                               // 00000001C574: 7EE81174
	v_cvt_i32_f32_e32 v117, v117                               // 00000001C578: 7EEA1175
	v_cvt_i32_f32_e32 v118, v118                               // 00000001C57C: 7EEC1176
	v_cvt_i32_f32_e32 v119, v119                               // 00000001C580: 7EEE1177
	v_cvt_i32_f32_e32 v120, v120                               // 00000001C584: 7EF01178
	v_cvt_i32_f32_e32 v121, v121                               // 00000001C588: 7EF21179
	v_cvt_i32_f32_e32 v122, v122                               // 00000001C58C: 7EF4117A
	v_cvt_i32_f32_e32 v123, v123                               // 00000001C590: 7EF6117B
	v_cvt_i32_f32_e32 v124, v124                               // 00000001C594: 7EF8117C
	v_cvt_i32_f32_e32 v125, v125                               // 00000001C598: 7EFA117D
	v_cvt_i32_f32_e32 v126, v126                               // 00000001C59C: 7EFC117E
	v_cvt_i32_f32_e32 v127, v127                               // 00000001C5A0: 7EFE117F
	v_perm_b32 v112, v113, v112, s53                           // 00000001C5A4: D1ED0070 00D6E171
	v_perm_b32 v112, v114, v112, s54                           // 00000001C5AC: D1ED0070 00DAE172
	v_perm_b32 v112, v115, v112, s55                           // 00000001C5B4: D1ED0070 00DEE173
	v_perm_b32 v113, v117, v116, s53                           // 00000001C5BC: D1ED0071 00D6E975
	v_perm_b32 v113, v118, v113, s54                           // 00000001C5C4: D1ED0071 00DAE376
	v_perm_b32 v113, v119, v113, s55                           // 00000001C5CC: D1ED0071 00DEE377
	v_perm_b32 v114, v121, v120, s53                           // 00000001C5D4: D1ED0072 00D6F179
	v_perm_b32 v114, v122, v114, s54                           // 00000001C5DC: D1ED0072 00DAE57A
	v_perm_b32 v114, v123, v114, s55                           // 00000001C5E4: D1ED0072 00DEE57B
	v_perm_b32 v115, v125, v124, s53                           // 00000001C5EC: D1ED0073 00D6F97D
	v_perm_b32 v115, v126, v115, s54                           // 00000001C5F4: D1ED0073 00DAE77E
	v_perm_b32 v115, v127, v115, s55                           // 00000001C5FC: D1ED0073 00DEE77F
	ds_write_b32 v10, v112 offset:25088                        // 00000001C604: D81A6200 0000700A
	ds_write_b32 v10, v113 offset:26112                        // 00000001C60C: D81A6600 0000710A
	ds_write_b32 v10, v114 offset:27136                        // 00000001C614: D81A6A00 0000720A
	ds_write_b32 v10, v115 offset:28160                        // 00000001C61C: D81A6E00 0000730A
	v_add_f32_e32 v208, v208, v176                             // 00000001C624: 03A161D0
	v_add_f32_e32 v209, v209, v177                             // 00000001C628: 03A363D1
	v_add_f32_e32 v210, v210, v178                             // 00000001C62C: 03A565D2
	v_add_f32_e32 v211, v211, v179                             // 00000001C630: 03A767D3
	v_add_f32_e32 v212, v212, v180                             // 00000001C634: 03A969D4
	v_add_f32_e32 v213, v213, v181                             // 00000001C638: 03AB6BD5
	v_add_f32_e32 v214, v214, v182                             // 00000001C63C: 03AD6DD6
	v_add_f32_e32 v215, v215, v183                             // 00000001C640: 03AF6FD7
	v_rcp_f32_e32 v44, v48                                     // 00000001C644: 7E584530
	s_waitcnt lgkmcnt(0)                                       // 00000001C648: BF8CC07F
	s_barrier                                                  // 00000001C64C: BF8A0000
	ds_read_b64 v[112:113], v9 offset:25088                    // 00000001C650: D8EC6200 70000009
	ds_read_b64 v[114:115], v9 offset:25216                    // 00000001C658: D8EC6280 72000009
	ds_read_b64 v[116:117], v9 offset:26112                    // 00000001C660: D8EC6600 74000009
	ds_read_b64 v[118:119], v9 offset:26240                    // 00000001C668: D8EC6680 76000009
	ds_read_b64 v[120:121], v9 offset:27136                    // 00000001C670: D8EC6A00 78000009
	ds_read_b64 v[122:123], v9 offset:27264                    // 00000001C678: D8EC6A80 7A000009
	ds_read_b64 v[124:125], v9 offset:28160                    // 00000001C680: D8EC6E00 7C000009
	ds_read_b64 v[126:127], v9 offset:28288                    // 00000001C688: D8EC6E80 7E000009
	v_mov_b32_dpp v64, v42 row_shr:4 row_mask:0xf bank_mask:0xf// 00000001C690: 7E8002FA FF01142A
	v_mov_b32_dpp v65, v42 row_shl:4 row_mask:0xf bank_mask:0xf// 00000001C698: 7E8202FA FF01042A
	v_cndmask_b32_e64 v248, v42, v64, s[44:45]                 // 00000001C6A0: D10000F8 00B2812A
	v_cndmask_b32_e64 v249, v65, v42, s[44:45]                 // 00000001C6A8: D10000F9 00B25541
	v_mov_b32_dpp v64, v248 row_shr:8 row_mask:0xf bank_mask:0xf// 00000001C6B0: 7E8002FA FF0118F8
	v_mov_b32_dpp v65, v248 row_shl:8 row_mask:0xf bank_mask:0xf// 00000001C6B8: 7E8202FA FF0108F8
	v_mov_b32_dpp v66, v249 row_shr:8 row_mask:0xf bank_mask:0xf// 00000001C6C0: 7E8402FA FF0118F9
	v_mov_b32_dpp v67, v249 row_shl:8 row_mask:0xf bank_mask:0xf// 00000001C6C8: 7E8602FA FF0108F9
	v_mov_b32_e32 v68, v248                                    // 00000001C6D0: 7E8803F8
	v_mov_b32_e32 v69, v249                                    // 00000001C6D4: 7E8A03F9
	v_cndmask_b32_e64 v248, v68, v64, s[42:43]                 // 00000001C6D8: D10000F8 00AA8144
	v_cndmask_b32_e64 v250, v68, v65, s[78:79]                 // 00000001C6E0: D10000FA 013A8344
	v_cndmask_b32_e64 v249, v69, v66, s[42:43]                 // 00000001C6E8: D10000F9 00AA8545
	v_cndmask_b32_e64 v251, v69, v67, s[78:79]                 // 00000001C6F0: D10000FB 013A8745
	v_mov_b32_dpp v64, v57 row_shr:4 row_mask:0xf bank_mask:0xf// 00000001C6F8: 7E8002FA FF011439
	v_mov_b32_dpp v65, v57 row_shl:4 row_mask:0xf bank_mask:0xf// 00000001C700: 7E8202FA FF010439
	v_cndmask_b32_e64 v252, v57, v64, s[44:45]                 // 00000001C708: D10000FC 00B28139
	v_cndmask_b32_e64 v253, v65, v57, s[44:45]                 // 00000001C710: D10000FD 00B27341
	v_mov_b32_dpp v64, v252 row_shr:8 row_mask:0xf bank_mask:0xf// 00000001C718: 7E8002FA FF0118FC
	v_mov_b32_dpp v65, v252 row_shl:8 row_mask:0xf bank_mask:0xf// 00000001C720: 7E8202FA FF0108FC
	v_mov_b32_dpp v66, v253 row_shr:8 row_mask:0xf bank_mask:0xf// 00000001C728: 7E8402FA FF0118FD
	v_mov_b32_dpp v67, v253 row_shl:8 row_mask:0xf bank_mask:0xf// 00000001C730: 7E8602FA FF0108FD
	v_mov_b32_e32 v68, v252                                    // 00000001C738: 7E8803FC
	v_mov_b32_e32 v69, v253                                    // 00000001C73C: 7E8A03FD
	v_cndmask_b32_e64 v252, v68, v64, s[42:43]                 // 00000001C740: D10000FC 00AA8144
	v_cndmask_b32_e64 v254, v68, v65, s[78:79]                 // 00000001C748: D10000FE 013A8344
	v_cndmask_b32_e64 v253, v69, v66, s[42:43]                 // 00000001C750: D10000FD 00AA8545
	v_cndmask_b32_e64 v255, v69, v67, s[78:79]                 // 00000001C758: D10000FF 013A8745
	v_cvt_f32_i32_e32 v128, v128                               // 00000001C760: 7F000B80
	v_cvt_f32_i32_e32 v129, v129                               // 00000001C764: 7F020B81
	v_cvt_f32_i32_e32 v130, v130                               // 00000001C768: 7F040B82
	v_cvt_f32_i32_e32 v131, v131                               // 00000001C76C: 7F060B83
	v_cvt_f32_i32_e32 v132, v132                               // 00000001C770: 7F080B84
	v_cvt_f32_i32_e32 v133, v133                               // 00000001C774: 7F0A0B85
	v_cvt_f32_i32_e32 v134, v134                               // 00000001C778: 7F0C0B86
	v_cvt_f32_i32_e32 v135, v135                               // 00000001C77C: 7F0E0B87
	v_cvt_f32_i32_e32 v136, v136                               // 00000001C780: 7F100B88
	v_cvt_f32_i32_e32 v137, v137                               // 00000001C784: 7F120B89
	v_cvt_f32_i32_e32 v138, v138                               // 00000001C788: 7F140B8A
	v_cvt_f32_i32_e32 v139, v139                               // 00000001C78C: 7F160B8B
	v_cvt_f32_i32_e32 v140, v140                               // 00000001C790: 7F180B8C
	v_cvt_f32_i32_e32 v141, v141                               // 00000001C794: 7F1A0B8D
	v_cvt_f32_i32_e32 v142, v142                               // 00000001C798: 7F1C0B8E
	v_cvt_f32_i32_e32 v143, v143                               // 00000001C79C: 7F1E0B8F
	v_mul_f32_e32 v128, v19, v128                              // 00000001C7A0: 0B010113
	v_mul_f32_e32 v129, v19, v129                              // 00000001C7A4: 0B030313
	v_mul_f32_e32 v130, v19, v130                              // 00000001C7A8: 0B050513
	v_mul_f32_e32 v131, v19, v131                              // 00000001C7AC: 0B070713
	v_mul_f32_e32 v132, v19, v132                              // 00000001C7B0: 0B090913
	v_mul_f32_e32 v133, v19, v133                              // 00000001C7B4: 0B0B0B13
	v_mul_f32_e32 v134, v19, v134                              // 00000001C7B8: 0B0D0D13
	v_mul_f32_e32 v135, v19, v135                              // 00000001C7BC: 0B0F0F13
	v_mul_f32_e32 v136, v19, v136                              // 00000001C7C0: 0B111113
	v_mul_f32_e32 v137, v19, v137                              // 00000001C7C4: 0B131313
	v_mul_f32_e32 v138, v19, v138                              // 00000001C7C8: 0B151513
	v_mul_f32_e32 v139, v19, v139                              // 00000001C7CC: 0B171713
	v_mul_f32_e32 v140, v19, v140                              // 00000001C7D0: 0B191913
	v_mul_f32_e32 v141, v19, v141                              // 00000001C7D4: 0B1B1B13
	v_mul_f32_e32 v142, v19, v142                              // 00000001C7D8: 0B1D1D13
	v_mul_f32_e32 v143, v19, v143                              // 00000001C7DC: 0B1F1F13
	v_mul_f32_dpp v128, v248, v128 quad_perm:[0,0,0,0] row_mask:0xf bank_mask:0xf// 00000001C7E0: 0B0100FA FF0000F8
	v_mul_f32_dpp v129, v248, v129 quad_perm:[1,1,1,1] row_mask:0xf bank_mask:0xf// 00000001C7E8: 0B0302FA FF0055F8
	v_mul_f32_dpp v130, v248, v130 quad_perm:[2,2,2,2] row_mask:0xf bank_mask:0xf// 00000001C7F0: 0B0504FA FF00AAF8
	v_mul_f32_dpp v131, v248, v131 quad_perm:[3,3,3,3] row_mask:0xf bank_mask:0xf// 00000001C7F8: 0B0706FA FF00FFF8
	v_mul_f32_dpp v132, v249, v132 quad_perm:[0,0,0,0] row_mask:0xf bank_mask:0xf// 00000001C800: 0B0908FA FF0000F9
	v_mul_f32_dpp v133, v249, v133 quad_perm:[1,1,1,1] row_mask:0xf bank_mask:0xf// 00000001C808: 0B0B0AFA FF0055F9
	v_mul_f32_dpp v134, v249, v134 quad_perm:[2,2,2,2] row_mask:0xf bank_mask:0xf// 00000001C810: 0B0D0CFA FF00AAF9
	v_mul_f32_dpp v135, v249, v135 quad_perm:[3,3,3,3] row_mask:0xf bank_mask:0xf// 00000001C818: 0B0F0EFA FF00FFF9
	v_mul_f32_dpp v136, v250, v136 quad_perm:[0,0,0,0] row_mask:0xf bank_mask:0xf// 00000001C820: 0B1110FA FF0000FA
	v_mul_f32_dpp v137, v250, v137 quad_perm:[1,1,1,1] row_mask:0xf bank_mask:0xf// 00000001C828: 0B1312FA FF0055FA
	v_mul_f32_dpp v138, v250, v138 quad_perm:[2,2,2,2] row_mask:0xf bank_mask:0xf// 00000001C830: 0B1514FA FF00AAFA
	v_mul_f32_dpp v139, v250, v139 quad_perm:[3,3,3,3] row_mask:0xf bank_mask:0xf// 00000001C838: 0B1716FA FF00FFFA
	v_mul_f32_dpp v140, v251, v140 quad_perm:[0,0,0,0] row_mask:0xf bank_mask:0xf// 00000001C840: 0B1918FA FF0000FB
	v_mul_f32_dpp v141, v251, v141 quad_perm:[1,1,1,1] row_mask:0xf bank_mask:0xf// 00000001C848: 0B1B1AFA FF0055FB
	v_mul_f32_dpp v142, v251, v142 quad_perm:[2,2,2,2] row_mask:0xf bank_mask:0xf// 00000001C850: 0B1D1CFA FF00AAFB
	v_mul_f32_dpp v143, v251, v143 quad_perm:[3,3,3,3] row_mask:0xf bank_mask:0xf// 00000001C858: 0B1F1EFA FF00FFFB
	v_mov_b32_e32 v48, v128                                    // 00000001C860: 7E600380
	v_max3_f32 v48, v128, v129, v48                            // 00000001C864: D1D30030 04C30380
	v_max3_f32 v48, v130, v131, v48                            // 00000001C86C: D1D30030 04C30782
	v_max3_f32 v48, v132, v133, v48                            // 00000001C874: D1D30030 04C30B84
	v_max3_f32 v48, v134, v135, v48                            // 00000001C87C: D1D30030 04C30F86
	v_max3_f32 v48, v136, v137, v48                            // 00000001C884: D1D30030 04C31388
	v_max3_f32 v48, v138, v139, v48                            // 00000001C88C: D1D30030 04C3178A
	v_max3_f32 v48, v140, v141, v48                            // 00000001C894: D1D30030 04C31B8C
	v_max3_f32 v48, v142, v143, v48                            // 00000001C89C: D1D30030 04C31F8E
	ds_write_b32 v8, v48 offset:16896                          // 00000001C8A4: D81A4200 00003008
	v_mul_f32_e32 v216, v50, v216                              // 00000001C8AC: 0BB1B132
	v_mul_f32_e32 v217, v50, v217                              // 00000001C8B0: 0BB3B332
	v_mul_f32_e32 v218, v50, v218                              // 00000001C8B4: 0BB5B532
	v_mul_f32_e32 v219, v50, v219                              // 00000001C8B8: 0BB7B732
	v_mul_f32_e32 v220, v50, v220                              // 00000001C8BC: 0BB9B932
	v_mul_f32_e32 v221, v50, v221                              // 00000001C8C0: 0BBBBB32
	v_mul_f32_e32 v222, v50, v222                              // 00000001C8C4: 0BBDBD32
	v_mul_f32_e32 v223, v50, v223                              // 00000001C8C8: 0BBFBF32
	s_waitcnt lgkmcnt(0)                                       // 00000001C8CC: BF8CC07F
	s_barrier                                                  // 00000001C8D0: BF8A0000
	ds_read_b32 v64, v7 offset:16896                           // 00000001C8D4: D86C4200 40000007
	ds_read_b32 v65, v7 offset:16960                           // 00000001C8DC: D86C4240 41000007
	ds_read_b32 v66, v7 offset:17024                           // 00000001C8E4: D86C4280 42000007
	ds_read_b32 v67, v7 offset:17088                           // 00000001C8EC: D86C42C0 43000007
	ds_read_b32 v68, v7 offset:17152                           // 00000001C8F4: D86C4300 44000007
	ds_read_b32 v69, v7 offset:17216                           // 00000001C8FC: D86C4340 45000007
	ds_read_b32 v70, v7 offset:17280                           // 00000001C904: D86C4380 46000007
	ds_read_b32 v71, v7 offset:17344                           // 00000001C90C: D86C43C0 47000007
	ds_read_b32 v72, v7 offset:17408                           // 00000001C914: D86C4400 48000007
	ds_read_b32 v73, v7 offset:17472                           // 00000001C91C: D86C4440 49000007
	ds_read_b32 v74, v7 offset:17536                           // 00000001C924: D86C4480 4A000007
	ds_read_b32 v75, v7 offset:17600                           // 00000001C92C: D86C44C0 4B000007
	ds_read_b32 v76, v7 offset:17664                           // 00000001C934: D86C4500 4C000007
	ds_read_b32 v77, v7 offset:17728                           // 00000001C93C: D86C4540 4D000007
	ds_read_b32 v78, v7 offset:17792                           // 00000001C944: D86C4580 4E000007
	ds_read_b32 v79, v7 offset:17856                           // 00000001C94C: D86C45C0 4F000007
	v_cvt_f32_i32_e32 v184, v184                               // 00000001C954: 7F700BB8
	v_cvt_f32_i32_e32 v185, v185                               // 00000001C958: 7F720BB9
	v_cvt_f32_i32_e32 v186, v186                               // 00000001C95C: 7F740BBA
	v_cvt_f32_i32_e32 v187, v187                               // 00000001C960: 7F760BBB
	v_cvt_f32_i32_e32 v188, v188                               // 00000001C964: 7F780BBC
	v_cvt_f32_i32_e32 v189, v189                               // 00000001C968: 7F7A0BBD
	v_cvt_f32_i32_e32 v190, v190                               // 00000001C96C: 7F7C0BBE
	v_cvt_f32_i32_e32 v191, v191                               // 00000001C970: 7F7E0BBF
	v_mul_f32_e32 v184, v45, v184                              // 00000001C974: 0B71712D
	v_mul_f32_e32 v185, v45, v185                              // 00000001C978: 0B73732D
	v_mul_f32_e32 v186, v45, v186                              // 00000001C97C: 0B75752D
	v_mul_f32_e32 v187, v45, v187                              // 00000001C980: 0B77772D
	v_mul_f32_e32 v188, v45, v188                              // 00000001C984: 0B79792D
	v_mul_f32_e32 v189, v45, v189                              // 00000001C988: 0B7B7B2D
	v_mul_f32_e32 v190, v45, v190                              // 00000001C98C: 0B7D7D2D
	v_mul_f32_e32 v191, v45, v191                              // 00000001C990: 0B7F7F2D
	s_waitcnt lgkmcnt(0)                                       // 00000001C994: BF8CC07F
	v_max3_f32 v48, v64, v65, v48                              // 00000001C998: D1D30030 04C28340
	v_max3_f32 v48, v66, v67, v48                              // 00000001C9A0: D1D30030 04C28742
	v_max3_f32 v48, v68, v69, v48                              // 00000001C9A8: D1D30030 04C28B44
	v_max3_f32 v48, v70, v71, v48                              // 00000001C9B0: D1D30030 04C28F46
	v_max3_f32 v48, v72, v73, v48                              // 00000001C9B8: D1D30030 04C29348
	v_max3_f32 v48, v74, v75, v48                              // 00000001C9C0: D1D30030 04C2974A
	v_max3_f32 v48, v76, v77, v48                              // 00000001C9C8: D1D30030 04C29B4C
	v_max3_f32 v48, v78, v79, v48                              // 00000001C9D0: D1D30030 04C29F4E
	v_mov_b32_e32 v64, 0xff800000                              // 00000001C9D8: 7E8002FF FF800000
	v_cmp_eq_u32_e64 s[40:41], v64, v12                        // 00000001C9E0: D0CA0028 00021940
	s_nop 1                                                    // 00000001C9E8: BF800001
	v_max_f32_e32 v15, v48, v12                                // 00000001C9EC: 161E1930
	v_mul_f32_e32 v53, s64, v15                                // 00000001C9F0: 0A6A1E40
	v_fma_f32 v128, v128, s64, -v53                            // 00000001C9F4: D1CB0080 84D48180
	v_fma_f32 v129, v129, s64, -v53                            // 00000001C9FC: D1CB0081 84D48181
	v_fma_f32 v130, v130, s64, -v53                            // 00000001CA04: D1CB0082 84D48182
	v_fma_f32 v131, v131, s64, -v53                            // 00000001CA0C: D1CB0083 84D48183
	v_fma_f32 v132, v132, s64, -v53                            // 00000001CA14: D1CB0084 84D48184
	v_fma_f32 v133, v133, s64, -v53                            // 00000001CA1C: D1CB0085 84D48185
	v_fma_f32 v134, v134, s64, -v53                            // 00000001CA24: D1CB0086 84D48186
	v_fma_f32 v135, v135, s64, -v53                            // 00000001CA2C: D1CB0087 84D48187
	v_fma_f32 v136, v136, s64, -v53                            // 00000001CA34: D1CB0088 84D48188
	v_fma_f32 v137, v137, s64, -v53                            // 00000001CA3C: D1CB0089 84D48189
	v_fma_f32 v138, v138, s64, -v53                            // 00000001CA44: D1CB008A 84D4818A
	v_fma_f32 v139, v139, s64, -v53                            // 00000001CA4C: D1CB008B 84D4818B
	v_fma_f32 v140, v140, s64, -v53                            // 00000001CA54: D1CB008C 84D4818C
	v_fma_f32 v141, v141, s64, -v53                            // 00000001CA5C: D1CB008D 84D4818D
	v_fma_f32 v142, v142, s64, -v53                            // 00000001CA64: D1CB008E 84D4818E
	v_fma_f32 v143, v143, s64, -v53                            // 00000001CA6C: D1CB008F 84D4818F
	v_exp_f32_e32 v128, v128                                   // 00000001CA74: 7F004180
	v_exp_f32_e32 v129, v129                                   // 00000001CA78: 7F024181
	v_exp_f32_e32 v130, v130                                   // 00000001CA7C: 7F044182
	v_exp_f32_e32 v131, v131                                   // 00000001CA80: 7F064183
	v_exp_f32_e32 v132, v132                                   // 00000001CA84: 7F084184
	v_exp_f32_e32 v133, v133                                   // 00000001CA88: 7F0A4185
	v_exp_f32_e32 v134, v134                                   // 00000001CA8C: 7F0C4186
	v_exp_f32_e32 v135, v135                                   // 00000001CA90: 7F0E4187
	v_exp_f32_e32 v136, v136                                   // 00000001CA94: 7F104188
	v_exp_f32_e32 v137, v137                                   // 00000001CA98: 7F124189
	v_exp_f32_e32 v138, v138                                   // 00000001CA9C: 7F14418A
	v_exp_f32_e32 v139, v139                                   // 00000001CAA0: 7F16418B
	v_exp_f32_e32 v140, v140                                   // 00000001CAA4: 7F18418C
	v_exp_f32_e32 v141, v141                                   // 00000001CAA8: 7F1A418D
	v_exp_f32_e32 v142, v142                                   // 00000001CAAC: 7F1C418E
	v_exp_f32_e32 v143, v143                                   // 00000001CAB0: 7F1E418F
	v_mul_f32_dpp v240, v252, v128 quad_perm:[0,0,0,0] row_mask:0xf bank_mask:0xf// 00000001CAB4: 0BE100FA FF0000FC
	v_mul_f32_dpp v241, v252, v129 quad_perm:[1,1,1,1] row_mask:0xf bank_mask:0xf// 00000001CABC: 0BE302FA FF0055FC
	v_mul_f32_dpp v242, v252, v130 quad_perm:[2,2,2,2] row_mask:0xf bank_mask:0xf// 00000001CAC4: 0BE504FA FF00AAFC
	v_mul_f32_dpp v243, v252, v131 quad_perm:[3,3,3,3] row_mask:0xf bank_mask:0xf// 00000001CACC: 0BE706FA FF00FFFC
	v_mul_f32_dpp v244, v253, v132 quad_perm:[0,0,0,0] row_mask:0xf bank_mask:0xf// 00000001CAD4: 0BE908FA FF0000FD
	v_mul_f32_dpp v245, v253, v133 quad_perm:[1,1,1,1] row_mask:0xf bank_mask:0xf// 00000001CADC: 0BEB0AFA FF0055FD
	v_mul_f32_dpp v246, v253, v134 quad_perm:[2,2,2,2] row_mask:0xf bank_mask:0xf// 00000001CAE4: 0BED0CFA FF00AAFD
	v_mul_f32_dpp v247, v253, v135 quad_perm:[3,3,3,3] row_mask:0xf bank_mask:0xf// 00000001CAEC: 0BEF0EFA FF00FFFD
	v_mul_f32_dpp v248, v254, v136 quad_perm:[0,0,0,0] row_mask:0xf bank_mask:0xf// 00000001CAF4: 0BF110FA FF0000FE
	v_mul_f32_dpp v249, v254, v137 quad_perm:[1,1,1,1] row_mask:0xf bank_mask:0xf// 00000001CAFC: 0BF312FA FF0055FE
	v_mul_f32_dpp v250, v254, v138 quad_perm:[2,2,2,2] row_mask:0xf bank_mask:0xf// 00000001CB04: 0BF514FA FF00AAFE
	v_mul_f32_dpp v251, v254, v139 quad_perm:[3,3,3,3] row_mask:0xf bank_mask:0xf// 00000001CB0C: 0BF716FA FF00FFFE
	v_mul_f32_dpp v252, v255, v140 quad_perm:[0,0,0,0] row_mask:0xf bank_mask:0xf// 00000001CB14: 0BF918FA FF0000FF
	v_mul_f32_dpp v253, v255, v141 quad_perm:[1,1,1,1] row_mask:0xf bank_mask:0xf// 00000001CB1C: 0BFB1AFA FF0055FF
	v_mul_f32_dpp v254, v255, v142 quad_perm:[2,2,2,2] row_mask:0xf bank_mask:0xf// 00000001CB24: 0BFD1CFA FF00AAFF
	v_mul_f32_dpp v255, v255, v143 quad_perm:[3,3,3,3] row_mask:0xf bank_mask:0xf// 00000001CB2C: 0BFF1EFA FF00FFFF
	v_mov_b32_e32 v48, 0x358637bd                              // 00000001CB34: 7E6002FF 358637BD
	v_max3_f32 v48, |v240|, |v241|, v48                        // 00000001CB3C: D1D30330 04C3E3F0
	v_max3_f32 v48, |v242|, |v243|, v48                        // 00000001CB44: D1D30330 04C3E7F2
	v_max3_f32 v48, |v244|, |v245|, v48                        // 00000001CB4C: D1D30330 04C3EBF4
	v_max3_f32 v48, |v246|, |v247|, v48                        // 00000001CB54: D1D30330 04C3EFF6
	v_max3_f32 v48, |v248|, |v249|, v48                        // 00000001CB5C: D1D30330 04C3F3F8
	v_max3_f32 v48, |v250|, |v251|, v48                        // 00000001CB64: D1D30330 04C3F7FA
	v_max3_f32 v48, |v252|, |v253|, v48                        // 00000001CB6C: D1D30330 04C3FBFC
	v_max3_f32 v48, |v254|, |v255|, v48                        // 00000001CB74: D1D30330 04C3FFFE
	ds_write_b32 v8, v48 offset:20992                          // 00000001CB7C: D81A5200 00003008
	v_sub_f32_e32 v50, v12, v15                                // 00000001CB84: 04641F0C
	v_cndmask_b32_e64 v50, v50, 0, s[40:41]                    // 00000001CB88: D1000032 00A10132
	v_mov_b32_e32 v12, v15                                     // 00000001CB90: 7E18030F
	v_mul_f32_e32 v50, s64, v50                                // 00000001CB94: 0A646440
	v_exp_f32_e32 v50, v50                                     // 00000001CB98: 7E644132
	s_waitcnt lgkmcnt(0)                                       // 00000001CB9C: BF8CC07F
	s_barrier                                                  // 00000001CBA0: BF8A0000
	ds_read_b32 v64, v7 offset:20992                           // 00000001CBA4: D86C5200 40000007
	ds_read_b32 v65, v7 offset:21056                           // 00000001CBAC: D86C5240 41000007
	ds_read_b32 v66, v7 offset:21120                           // 00000001CBB4: D86C5280 42000007
	ds_read_b32 v67, v7 offset:21184                           // 00000001CBBC: D86C52C0 43000007
	ds_read_b32 v68, v7 offset:21248                           // 00000001CBC4: D86C5300 44000007
	ds_read_b32 v69, v7 offset:21312                           // 00000001CBCC: D86C5340 45000007
	ds_read_b32 v70, v7 offset:21376                           // 00000001CBD4: D86C5380 46000007
	ds_read_b32 v71, v7 offset:21440                           // 00000001CBDC: D86C53C0 47000007
	ds_read_b32 v72, v7 offset:21504                           // 00000001CBE4: D86C5400 48000007
	ds_read_b32 v73, v7 offset:21568                           // 00000001CBEC: D86C5440 49000007
	ds_read_b32 v74, v7 offset:21632                           // 00000001CBF4: D86C5480 4A000007
	ds_read_b32 v75, v7 offset:21696                           // 00000001CBFC: D86C54C0 4B000007
	ds_read_b32 v76, v7 offset:21760                           // 00000001CC04: D86C5500 4C000007
	ds_read_b32 v77, v7 offset:21824                           // 00000001CC0C: D86C5540 4D000007
	ds_read_b32 v78, v7 offset:21888                           // 00000001CC14: D86C5580 4E000007
	ds_read_b32 v79, v7 offset:21952                           // 00000001CC1C: D86C55C0 4F000007
	v_mul_f32_e32 v39, v50, v39                                // 00000001CC24: 0A4E4F32
	v_mov_b32_e32 v15, v128                                    // 00000001CC28: 7E1E0380
	v_add_f32_e32 v15, v129, v15                               // 00000001CC2C: 021E1F81
	v_add_f32_e32 v15, v130, v15                               // 00000001CC30: 021E1F82
	v_add_f32_e32 v15, v131, v15                               // 00000001CC34: 021E1F83
	v_add_f32_e32 v15, v132, v15                               // 00000001CC38: 021E1F84
	v_add_f32_e32 v15, v133, v15                               // 00000001CC3C: 021E1F85
	v_add_f32_e32 v15, v134, v15                               // 00000001CC40: 021E1F86
	v_add_f32_e32 v15, v135, v15                               // 00000001CC44: 021E1F87
	v_add_f32_e32 v15, v136, v15                               // 00000001CC48: 021E1F88
	v_add_f32_e32 v15, v137, v15                               // 00000001CC4C: 021E1F89
	v_add_f32_e32 v15, v138, v15                               // 00000001CC50: 021E1F8A
	v_add_f32_e32 v15, v139, v15                               // 00000001CC54: 021E1F8B
	v_add_f32_e32 v15, v140, v15                               // 00000001CC58: 021E1F8C
	v_add_f32_e32 v15, v141, v15                               // 00000001CC5C: 021E1F8D
	v_add_f32_e32 v15, v142, v15                               // 00000001CC60: 021E1F8E
	v_add_f32_e32 v15, v143, v15                               // 00000001CC64: 021E1F8F
	v_add_f32_e32 v39, v15, v39                                // 00000001CC68: 024E4F0F
	s_waitcnt lgkmcnt(0)                                       // 00000001CC6C: BF8CC07F
	v_max3_f32 v48, |v64|, |v65|, v48                          // 00000001CC70: D1D30330 04C28340
	v_max3_f32 v48, |v66|, |v67|, v48                          // 00000001CC78: D1D30330 04C28742
	v_max3_f32 v48, |v68|, |v69|, v48                          // 00000001CC80: D1D30330 04C28B44
	v_max3_f32 v48, |v70|, |v71|, v48                          // 00000001CC88: D1D30330 04C28F46
	v_max3_f32 v48, |v72|, |v73|, v48                          // 00000001CC90: D1D30330 04C29348
	v_max3_f32 v48, |v74|, |v75|, v48                          // 00000001CC98: D1D30330 04C2974A
	v_max3_f32 v48, |v76|, |v77|, v48                          // 00000001CCA0: D1D30330 04C29B4C
	v_max3_f32 v48, |v78|, |v79|, v48                          // 00000001CCA8: D1D30330 04C29F4E
	s_nop 2                                                    // 00000001CCB0: BF800002
	v_rcp_f32_e32 v48, v48                                     // 00000001CCB4: 7E604530
	s_nop 1                                                    // 00000001CCB8: BF800001
	v_mul_f32_e32 v48, 0x42fe0000, v48                         // 00000001CCBC: 0A6060FF 42FE0000
	v_mul_f32_e32 v128, v48, v240                              // 00000001CCC4: 0B01E130
	v_mul_f32_e32 v129, v48, v241                              // 00000001CCC8: 0B03E330
	v_mul_f32_e32 v130, v48, v242                              // 00000001CCCC: 0B05E530
	v_mul_f32_e32 v131, v48, v243                              // 00000001CCD0: 0B07E730
	v_mul_f32_e32 v132, v48, v244                              // 00000001CCD4: 0B09E930
	v_mul_f32_e32 v133, v48, v245                              // 00000001CCD8: 0B0BEB30
	v_mul_f32_e32 v134, v48, v246                              // 00000001CCDC: 0B0DED30
	v_mul_f32_e32 v135, v48, v247                              // 00000001CCE0: 0B0FEF30
	v_mul_f32_e32 v136, v48, v248                              // 00000001CCE4: 0B11F130
	v_mul_f32_e32 v137, v48, v249                              // 00000001CCE8: 0B13F330
	v_mul_f32_e32 v138, v48, v250                              // 00000001CCEC: 0B15F530
	v_mul_f32_e32 v139, v48, v251                              // 00000001CCF0: 0B17F730
	v_mul_f32_e32 v140, v48, v252                              // 00000001CCF4: 0B19F930
	v_mul_f32_e32 v141, v48, v253                              // 00000001CCF8: 0B1BFB30
	v_mul_f32_e32 v142, v48, v254                              // 00000001CCFC: 0B1DFD30
	v_mul_f32_e32 v143, v48, v255                              // 00000001CD00: 0B1FFF30
	v_cvt_i32_f32_e32 v128, v128                               // 00000001CD04: 7F001180
	v_cvt_i32_f32_e32 v129, v129                               // 00000001CD08: 7F021181
	v_cvt_i32_f32_e32 v130, v130                               // 00000001CD0C: 7F041182
	v_cvt_i32_f32_e32 v131, v131                               // 00000001CD10: 7F061183
	v_cvt_i32_f32_e32 v132, v132                               // 00000001CD14: 7F081184
	v_cvt_i32_f32_e32 v133, v133                               // 00000001CD18: 7F0A1185
	v_cvt_i32_f32_e32 v134, v134                               // 00000001CD1C: 7F0C1186
	v_cvt_i32_f32_e32 v135, v135                               // 00000001CD20: 7F0E1187
	v_cvt_i32_f32_e32 v136, v136                               // 00000001CD24: 7F101188
	v_cvt_i32_f32_e32 v137, v137                               // 00000001CD28: 7F121189
	v_cvt_i32_f32_e32 v138, v138                               // 00000001CD2C: 7F14118A
	v_cvt_i32_f32_e32 v139, v139                               // 00000001CD30: 7F16118B
	v_cvt_i32_f32_e32 v140, v140                               // 00000001CD34: 7F18118C
	v_cvt_i32_f32_e32 v141, v141                               // 00000001CD38: 7F1A118D
	v_cvt_i32_f32_e32 v142, v142                               // 00000001CD3C: 7F1C118E
	v_cvt_i32_f32_e32 v143, v143                               // 00000001CD40: 7F1E118F
	v_perm_b32 v128, v129, v128, s53                           // 00000001CD44: D1ED0080 00D70181
	v_perm_b32 v128, v130, v128, s54                           // 00000001CD4C: D1ED0080 00DB0182
	v_perm_b32 v128, v131, v128, s55                           // 00000001CD54: D1ED0080 00DF0183
	v_perm_b32 v129, v133, v132, s53                           // 00000001CD5C: D1ED0081 00D70985
	v_perm_b32 v129, v134, v129, s54                           // 00000001CD64: D1ED0081 00DB0386
	v_perm_b32 v129, v135, v129, s55                           // 00000001CD6C: D1ED0081 00DF0387
	v_perm_b32 v130, v137, v136, s53                           // 00000001CD74: D1ED0082 00D71189
	v_perm_b32 v130, v138, v130, s54                           // 00000001CD7C: D1ED0082 00DB058A
	v_perm_b32 v130, v139, v130, s55                           // 00000001CD84: D1ED0082 00DF058B
	v_perm_b32 v131, v141, v140, s53                           // 00000001CD8C: D1ED0083 00D7198D
	v_perm_b32 v131, v142, v131, s54                           // 00000001CD94: D1ED0083 00DB078E
	v_perm_b32 v131, v143, v131, s55                           // 00000001CD9C: D1ED0083 00DF078F
	ds_write_b32 v10, v128 offset:29184                        // 00000001CDA4: D81A7200 0000800A
	ds_write_b32 v10, v129 offset:30208                        // 00000001CDAC: D81A7600 0000810A
	ds_write_b32 v10, v130 offset:31232                        // 00000001CDB4: D81A7A00 0000820A
	ds_write_b32 v10, v131 offset:32256                        // 00000001CDBC: D81A7E00 0000830A
	v_add_f32_e32 v216, v216, v184                             // 00000001CDC4: 03B171D8
	v_add_f32_e32 v217, v217, v185                             // 00000001CDC8: 03B373D9
	v_add_f32_e32 v218, v218, v186                             // 00000001CDCC: 03B575DA
	v_add_f32_e32 v219, v219, v187                             // 00000001CDD0: 03B777DB
	v_add_f32_e32 v220, v220, v188                             // 00000001CDD4: 03B979DC
	v_add_f32_e32 v221, v221, v189                             // 00000001CDD8: 03BB7BDD
	v_add_f32_e32 v222, v222, v190                             // 00000001CDDC: 03BD7DDE
	v_add_f32_e32 v223, v223, v191                             // 00000001CDE0: 03BF7FDF
	v_rcp_f32_e32 v45, v48                                     // 00000001CDE4: 7E5A4530
	s_waitcnt lgkmcnt(0)                                       // 00000001CDE8: BF8CC07F
	s_barrier                                                  // 00000001CDEC: BF8A0000
	ds_read_b64 v[128:129], v9 offset:29184                    // 00000001CDF0: D8EC7200 80000009
	ds_read_b64 v[130:131], v9 offset:29312                    // 00000001CDF8: D8EC7280 82000009
	ds_read_b64 v[132:133], v9 offset:30208                    // 00000001CE00: D8EC7600 84000009
	ds_read_b64 v[134:135], v9 offset:30336                    // 00000001CE08: D8EC7680 86000009
	ds_read_b64 v[136:137], v9 offset:31232                    // 00000001CE10: D8EC7A00 88000009
	ds_read_b64 v[138:139], v9 offset:31360                    // 00000001CE18: D8EC7A80 8A000009
	ds_read_b64 v[140:141], v9 offset:32256                    // 00000001CE20: D8EC7E00 8C000009
	ds_read_b64 v[142:143], v9 offset:32384                    // 00000001CE28: D8EC7E80 8E000009
	v_mov_b32_dpp v64, v42 row_shr:4 row_mask:0xf bank_mask:0xf// 00000001CE30: 7E8002FA FF01142A
	v_mov_b32_dpp v65, v42 row_shl:4 row_mask:0xf bank_mask:0xf// 00000001CE38: 7E8202FA FF01042A
	v_cndmask_b32_e64 v248, v42, v64, s[44:45]                 // 00000001CE40: D10000F8 00B2812A
	v_cndmask_b32_e64 v249, v65, v42, s[44:45]                 // 00000001CE48: D10000F9 00B25541
	v_mov_b32_dpp v64, v248 row_shr:8 row_mask:0xf bank_mask:0xf// 00000001CE50: 7E8002FA FF0118F8
	v_mov_b32_dpp v65, v248 row_shl:8 row_mask:0xf bank_mask:0xf// 00000001CE58: 7E8202FA FF0108F8
	v_mov_b32_dpp v66, v249 row_shr:8 row_mask:0xf bank_mask:0xf// 00000001CE60: 7E8402FA FF0118F9
	v_mov_b32_dpp v67, v249 row_shl:8 row_mask:0xf bank_mask:0xf// 00000001CE68: 7E8602FA FF0108F9
	v_mov_b32_e32 v68, v248                                    // 00000001CE70: 7E8803F8
	v_mov_b32_e32 v69, v249                                    // 00000001CE74: 7E8A03F9
	v_cndmask_b32_e64 v248, v68, v64, s[42:43]                 // 00000001CE78: D10000F8 00AA8144
	v_cndmask_b32_e64 v250, v68, v65, s[78:79]                 // 00000001CE80: D10000FA 013A8344
	v_cndmask_b32_e64 v249, v69, v66, s[42:43]                 // 00000001CE88: D10000F9 00AA8545
	v_cndmask_b32_e64 v251, v69, v67, s[78:79]                 // 00000001CE90: D10000FB 013A8745
	v_mov_b32_dpp v64, v57 row_shr:4 row_mask:0xf bank_mask:0xf// 00000001CE98: 7E8002FA FF011439
	v_mov_b32_dpp v65, v57 row_shl:4 row_mask:0xf bank_mask:0xf// 00000001CEA0: 7E8202FA FF010439
	v_cndmask_b32_e64 v252, v57, v64, s[44:45]                 // 00000001CEA8: D10000FC 00B28139
	v_cndmask_b32_e64 v253, v65, v57, s[44:45]                 // 00000001CEB0: D10000FD 00B27341
	v_mov_b32_dpp v64, v252 row_shr:8 row_mask:0xf bank_mask:0xf// 00000001CEB8: 7E8002FA FF0118FC
	v_mov_b32_dpp v65, v252 row_shl:8 row_mask:0xf bank_mask:0xf// 00000001CEC0: 7E8202FA FF0108FC
	v_mov_b32_dpp v66, v253 row_shr:8 row_mask:0xf bank_mask:0xf// 00000001CEC8: 7E8402FA FF0118FD
	v_mov_b32_dpp v67, v253 row_shl:8 row_mask:0xf bank_mask:0xf// 00000001CED0: 7E8602FA FF0108FD
	v_mov_b32_e32 v68, v252                                    // 00000001CED8: 7E8803FC
	v_mov_b32_e32 v69, v253                                    // 00000001CEDC: 7E8A03FD
	v_cndmask_b32_e64 v252, v68, v64, s[42:43]                 // 00000001CEE0: D10000FC 00AA8144
	v_cndmask_b32_e64 v254, v68, v65, s[78:79]                 // 00000001CEE8: D10000FE 013A8344
	v_cndmask_b32_e64 v253, v69, v66, s[42:43]                 // 00000001CEF0: D10000FD 00AA8545
	v_cndmask_b32_e64 v255, v69, v67, s[78:79]                 // 00000001CEF8: D10000FF 013A8745
	v_cvt_f32_i32_e32 v144, v144                               // 00000001CF00: 7F200B90
	v_cvt_f32_i32_e32 v145, v145                               // 00000001CF04: 7F220B91
	v_cvt_f32_i32_e32 v146, v146                               // 00000001CF08: 7F240B92
	v_cvt_f32_i32_e32 v147, v147                               // 00000001CF0C: 7F260B93
	v_cvt_f32_i32_e32 v148, v148                               // 00000001CF10: 7F280B94
	v_cvt_f32_i32_e32 v149, v149                               // 00000001CF14: 7F2A0B95
	v_cvt_f32_i32_e32 v150, v150                               // 00000001CF18: 7F2C0B96
	v_cvt_f32_i32_e32 v151, v151                               // 00000001CF1C: 7F2E0B97
	v_cvt_f32_i32_e32 v152, v152                               // 00000001CF20: 7F300B98
	v_cvt_f32_i32_e32 v153, v153                               // 00000001CF24: 7F320B99
	v_cvt_f32_i32_e32 v154, v154                               // 00000001CF28: 7F340B9A
	v_cvt_f32_i32_e32 v155, v155                               // 00000001CF2C: 7F360B9B
	v_cvt_f32_i32_e32 v156, v156                               // 00000001CF30: 7F380B9C
	v_cvt_f32_i32_e32 v157, v157                               // 00000001CF34: 7F3A0B9D
	v_cvt_f32_i32_e32 v158, v158                               // 00000001CF38: 7F3C0B9E
	v_cvt_f32_i32_e32 v159, v159                               // 00000001CF3C: 7F3E0B9F
	v_mul_f32_e32 v144, v20, v144                              // 00000001CF40: 0B212114
	v_mul_f32_e32 v145, v20, v145                              // 00000001CF44: 0B232314
	v_mul_f32_e32 v146, v20, v146                              // 00000001CF48: 0B252514
	v_mul_f32_e32 v147, v20, v147                              // 00000001CF4C: 0B272714
	v_mul_f32_e32 v148, v20, v148                              // 00000001CF50: 0B292914
	v_mul_f32_e32 v149, v20, v149                              // 00000001CF54: 0B2B2B14
	v_mul_f32_e32 v150, v20, v150                              // 00000001CF58: 0B2D2D14
	v_mul_f32_e32 v151, v20, v151                              // 00000001CF5C: 0B2F2F14
	v_mul_f32_e32 v152, v20, v152                              // 00000001CF60: 0B313114
	v_mul_f32_e32 v153, v20, v153                              // 00000001CF64: 0B333314
	v_mul_f32_e32 v154, v20, v154                              // 00000001CF68: 0B353514
	v_mul_f32_e32 v155, v20, v155                              // 00000001CF6C: 0B373714
	v_mul_f32_e32 v156, v20, v156                              // 00000001CF70: 0B393914
	v_mul_f32_e32 v157, v20, v157                              // 00000001CF74: 0B3B3B14
	v_mul_f32_e32 v158, v20, v158                              // 00000001CF78: 0B3D3D14
	v_mul_f32_e32 v159, v20, v159                              // 00000001CF7C: 0B3F3F14
	v_mul_f32_dpp v144, v248, v144 quad_perm:[0,0,0,0] row_mask:0xf bank_mask:0xf// 00000001CF80: 0B2120FA FF0000F8
	v_mul_f32_dpp v145, v248, v145 quad_perm:[1,1,1,1] row_mask:0xf bank_mask:0xf// 00000001CF88: 0B2322FA FF0055F8
	v_mul_f32_dpp v146, v248, v146 quad_perm:[2,2,2,2] row_mask:0xf bank_mask:0xf// 00000001CF90: 0B2524FA FF00AAF8
	v_mul_f32_dpp v147, v248, v147 quad_perm:[3,3,3,3] row_mask:0xf bank_mask:0xf// 00000001CF98: 0B2726FA FF00FFF8
	v_mul_f32_dpp v148, v249, v148 quad_perm:[0,0,0,0] row_mask:0xf bank_mask:0xf// 00000001CFA0: 0B2928FA FF0000F9
	v_mul_f32_dpp v149, v249, v149 quad_perm:[1,1,1,1] row_mask:0xf bank_mask:0xf// 00000001CFA8: 0B2B2AFA FF0055F9
	v_mul_f32_dpp v150, v249, v150 quad_perm:[2,2,2,2] row_mask:0xf bank_mask:0xf// 00000001CFB0: 0B2D2CFA FF00AAF9
	v_mul_f32_dpp v151, v249, v151 quad_perm:[3,3,3,3] row_mask:0xf bank_mask:0xf// 00000001CFB8: 0B2F2EFA FF00FFF9
	v_mul_f32_dpp v152, v250, v152 quad_perm:[0,0,0,0] row_mask:0xf bank_mask:0xf// 00000001CFC0: 0B3130FA FF0000FA
	v_mul_f32_dpp v153, v250, v153 quad_perm:[1,1,1,1] row_mask:0xf bank_mask:0xf// 00000001CFC8: 0B3332FA FF0055FA
	v_mul_f32_dpp v154, v250, v154 quad_perm:[2,2,2,2] row_mask:0xf bank_mask:0xf// 00000001CFD0: 0B3534FA FF00AAFA
	v_mul_f32_dpp v155, v250, v155 quad_perm:[3,3,3,3] row_mask:0xf bank_mask:0xf// 00000001CFD8: 0B3736FA FF00FFFA
	v_mul_f32_dpp v156, v251, v156 quad_perm:[0,0,0,0] row_mask:0xf bank_mask:0xf// 00000001CFE0: 0B3938FA FF0000FB
	v_mul_f32_dpp v157, v251, v157 quad_perm:[1,1,1,1] row_mask:0xf bank_mask:0xf// 00000001CFE8: 0B3B3AFA FF0055FB
	v_mul_f32_dpp v158, v251, v158 quad_perm:[2,2,2,2] row_mask:0xf bank_mask:0xf// 00000001CFF0: 0B3D3CFA FF00AAFB
	v_mul_f32_dpp v159, v251, v159 quad_perm:[3,3,3,3] row_mask:0xf bank_mask:0xf// 00000001CFF8: 0B3F3EFA FF00FFFB
	v_mov_b32_e32 v48, v144                                    // 00000001D000: 7E600390
	v_max3_f32 v48, v144, v145, v48                            // 00000001D004: D1D30030 04C32390
	v_max3_f32 v48, v146, v147, v48                            // 00000001D00C: D1D30030 04C32792
	v_max3_f32 v48, v148, v149, v48                            // 00000001D014: D1D30030 04C32B94
	v_max3_f32 v48, v150, v151, v48                            // 00000001D01C: D1D30030 04C32F96
	v_max3_f32 v48, v152, v153, v48                            // 00000001D024: D1D30030 04C33398
	v_max3_f32 v48, v154, v155, v48                            // 00000001D02C: D1D30030 04C3379A
	v_max3_f32 v48, v156, v157, v48                            // 00000001D034: D1D30030 04C33B9C
	v_max3_f32 v48, v158, v159, v48                            // 00000001D03C: D1D30030 04C33F9E
	ds_write_b32 v8, v48 offset:16896                          // 00000001D044: D81A4200 00003008
	v_mul_f32_e32 v224, v51, v224                              // 00000001D04C: 0BC1C133
	v_mul_f32_e32 v225, v51, v225                              // 00000001D050: 0BC3C333
	v_mul_f32_e32 v226, v51, v226                              // 00000001D054: 0BC5C533
	v_mul_f32_e32 v227, v51, v227                              // 00000001D058: 0BC7C733
	v_mul_f32_e32 v228, v51, v228                              // 00000001D05C: 0BC9C933
	v_mul_f32_e32 v229, v51, v229                              // 00000001D060: 0BCBCB33
	v_mul_f32_e32 v230, v51, v230                              // 00000001D064: 0BCDCD33
	v_mul_f32_e32 v231, v51, v231                              // 00000001D068: 0BCFCF33
	s_waitcnt lgkmcnt(0)                                       // 00000001D06C: BF8CC07F
	s_barrier                                                  // 00000001D070: BF8A0000
	ds_read_b32 v64, v7 offset:16896                           // 00000001D074: D86C4200 40000007
	ds_read_b32 v65, v7 offset:16960                           // 00000001D07C: D86C4240 41000007
	ds_read_b32 v66, v7 offset:17024                           // 00000001D084: D86C4280 42000007
	ds_read_b32 v67, v7 offset:17088                           // 00000001D08C: D86C42C0 43000007
	ds_read_b32 v68, v7 offset:17152                           // 00000001D094: D86C4300 44000007
	ds_read_b32 v69, v7 offset:17216                           // 00000001D09C: D86C4340 45000007
	ds_read_b32 v70, v7 offset:17280                           // 00000001D0A4: D86C4380 46000007
	ds_read_b32 v71, v7 offset:17344                           // 00000001D0AC: D86C43C0 47000007
	ds_read_b32 v72, v7 offset:17408                           // 00000001D0B4: D86C4400 48000007
	ds_read_b32 v73, v7 offset:17472                           // 00000001D0BC: D86C4440 49000007
	ds_read_b32 v74, v7 offset:17536                           // 00000001D0C4: D86C4480 4A000007
	ds_read_b32 v75, v7 offset:17600                           // 00000001D0CC: D86C44C0 4B000007
	ds_read_b32 v76, v7 offset:17664                           // 00000001D0D4: D86C4500 4C000007
	ds_read_b32 v77, v7 offset:17728                           // 00000001D0DC: D86C4540 4D000007
	ds_read_b32 v78, v7 offset:17792                           // 00000001D0E4: D86C4580 4E000007
	ds_read_b32 v79, v7 offset:17856                           // 00000001D0EC: D86C45C0 4F000007
	v_cvt_f32_i32_e32 v192, v192                               // 00000001D0F4: 7F800BC0
	v_cvt_f32_i32_e32 v193, v193                               // 00000001D0F8: 7F820BC1
	v_cvt_f32_i32_e32 v194, v194                               // 00000001D0FC: 7F840BC2
	v_cvt_f32_i32_e32 v195, v195                               // 00000001D100: 7F860BC3
	v_cvt_f32_i32_e32 v196, v196                               // 00000001D104: 7F880BC4
	v_cvt_f32_i32_e32 v197, v197                               // 00000001D108: 7F8A0BC5
	v_cvt_f32_i32_e32 v198, v198                               // 00000001D10C: 7F8C0BC6
	v_cvt_f32_i32_e32 v199, v199                               // 00000001D110: 7F8E0BC7
	v_mul_f32_e32 v192, v46, v192                              // 00000001D114: 0B81812E
	v_mul_f32_e32 v193, v46, v193                              // 00000001D118: 0B83832E
	v_mul_f32_e32 v194, v46, v194                              // 00000001D11C: 0B85852E
	v_mul_f32_e32 v195, v46, v195                              // 00000001D120: 0B87872E
	v_mul_f32_e32 v196, v46, v196                              // 00000001D124: 0B89892E
	v_mul_f32_e32 v197, v46, v197                              // 00000001D128: 0B8B8B2E
	v_mul_f32_e32 v198, v46, v198                              // 00000001D12C: 0B8D8D2E
	v_mul_f32_e32 v199, v46, v199                              // 00000001D130: 0B8F8F2E
	s_waitcnt lgkmcnt(0)                                       // 00000001D134: BF8CC07F
	v_max3_f32 v48, v64, v65, v48                              // 00000001D138: D1D30030 04C28340
	v_max3_f32 v48, v66, v67, v48                              // 00000001D140: D1D30030 04C28742
	v_max3_f32 v48, v68, v69, v48                              // 00000001D148: D1D30030 04C28B44
	v_max3_f32 v48, v70, v71, v48                              // 00000001D150: D1D30030 04C28F46
	v_max3_f32 v48, v72, v73, v48                              // 00000001D158: D1D30030 04C29348
	v_max3_f32 v48, v74, v75, v48                              // 00000001D160: D1D30030 04C2974A
	v_max3_f32 v48, v76, v77, v48                              // 00000001D168: D1D30030 04C29B4C
	v_max3_f32 v48, v78, v79, v48                              // 00000001D170: D1D30030 04C29F4E
	v_mov_b32_e32 v64, 0xff800000                              // 00000001D178: 7E8002FF FF800000
	v_cmp_eq_u32_e64 s[40:41], v64, v13                        // 00000001D180: D0CA0028 00021B40
	s_nop 1                                                    // 00000001D188: BF800001
	v_max_f32_e32 v15, v48, v13                                // 00000001D18C: 161E1B30
	v_mul_f32_e32 v53, s64, v15                                // 00000001D190: 0A6A1E40
	v_fma_f32 v144, v144, s64, -v53                            // 00000001D194: D1CB0090 84D48190
	v_fma_f32 v145, v145, s64, -v53                            // 00000001D19C: D1CB0091 84D48191
	v_fma_f32 v146, v146, s64, -v53                            // 00000001D1A4: D1CB0092 84D48192
	v_fma_f32 v147, v147, s64, -v53                            // 00000001D1AC: D1CB0093 84D48193
	v_fma_f32 v148, v148, s64, -v53                            // 00000001D1B4: D1CB0094 84D48194
	v_fma_f32 v149, v149, s64, -v53                            // 00000001D1BC: D1CB0095 84D48195
	v_fma_f32 v150, v150, s64, -v53                            // 00000001D1C4: D1CB0096 84D48196
	v_fma_f32 v151, v151, s64, -v53                            // 00000001D1CC: D1CB0097 84D48197
	v_fma_f32 v152, v152, s64, -v53                            // 00000001D1D4: D1CB0098 84D48198
	v_fma_f32 v153, v153, s64, -v53                            // 00000001D1DC: D1CB0099 84D48199
	v_fma_f32 v154, v154, s64, -v53                            // 00000001D1E4: D1CB009A 84D4819A
	v_fma_f32 v155, v155, s64, -v53                            // 00000001D1EC: D1CB009B 84D4819B
	v_fma_f32 v156, v156, s64, -v53                            // 00000001D1F4: D1CB009C 84D4819C
	v_fma_f32 v157, v157, s64, -v53                            // 00000001D1FC: D1CB009D 84D4819D
	v_fma_f32 v158, v158, s64, -v53                            // 00000001D204: D1CB009E 84D4819E
	v_fma_f32 v159, v159, s64, -v53                            // 00000001D20C: D1CB009F 84D4819F
	v_exp_f32_e32 v144, v144                                   // 00000001D214: 7F204190
	v_exp_f32_e32 v145, v145                                   // 00000001D218: 7F224191
	v_exp_f32_e32 v146, v146                                   // 00000001D21C: 7F244192
	v_exp_f32_e32 v147, v147                                   // 00000001D220: 7F264193
	v_exp_f32_e32 v148, v148                                   // 00000001D224: 7F284194
	v_exp_f32_e32 v149, v149                                   // 00000001D228: 7F2A4195
	v_exp_f32_e32 v150, v150                                   // 00000001D22C: 7F2C4196
	v_exp_f32_e32 v151, v151                                   // 00000001D230: 7F2E4197
	v_exp_f32_e32 v152, v152                                   // 00000001D234: 7F304198
	v_exp_f32_e32 v153, v153                                   // 00000001D238: 7F324199
	v_exp_f32_e32 v154, v154                                   // 00000001D23C: 7F34419A
	v_exp_f32_e32 v155, v155                                   // 00000001D240: 7F36419B
	v_exp_f32_e32 v156, v156                                   // 00000001D244: 7F38419C
	v_exp_f32_e32 v157, v157                                   // 00000001D248: 7F3A419D
	v_exp_f32_e32 v158, v158                                   // 00000001D24C: 7F3C419E
	v_exp_f32_e32 v159, v159                                   // 00000001D250: 7F3E419F
	v_mul_f32_dpp v240, v252, v144 quad_perm:[0,0,0,0] row_mask:0xf bank_mask:0xf// 00000001D254: 0BE120FA FF0000FC
	v_mul_f32_dpp v241, v252, v145 quad_perm:[1,1,1,1] row_mask:0xf bank_mask:0xf// 00000001D25C: 0BE322FA FF0055FC
	v_mul_f32_dpp v242, v252, v146 quad_perm:[2,2,2,2] row_mask:0xf bank_mask:0xf// 00000001D264: 0BE524FA FF00AAFC
	v_mul_f32_dpp v243, v252, v147 quad_perm:[3,3,3,3] row_mask:0xf bank_mask:0xf// 00000001D26C: 0BE726FA FF00FFFC
	v_mul_f32_dpp v244, v253, v148 quad_perm:[0,0,0,0] row_mask:0xf bank_mask:0xf// 00000001D274: 0BE928FA FF0000FD
	v_mul_f32_dpp v245, v253, v149 quad_perm:[1,1,1,1] row_mask:0xf bank_mask:0xf// 00000001D27C: 0BEB2AFA FF0055FD
	v_mul_f32_dpp v246, v253, v150 quad_perm:[2,2,2,2] row_mask:0xf bank_mask:0xf// 00000001D284: 0BED2CFA FF00AAFD
	v_mul_f32_dpp v247, v253, v151 quad_perm:[3,3,3,3] row_mask:0xf bank_mask:0xf// 00000001D28C: 0BEF2EFA FF00FFFD
	v_mul_f32_dpp v248, v254, v152 quad_perm:[0,0,0,0] row_mask:0xf bank_mask:0xf// 00000001D294: 0BF130FA FF0000FE
	v_mul_f32_dpp v249, v254, v153 quad_perm:[1,1,1,1] row_mask:0xf bank_mask:0xf// 00000001D29C: 0BF332FA FF0055FE
	v_mul_f32_dpp v250, v254, v154 quad_perm:[2,2,2,2] row_mask:0xf bank_mask:0xf// 00000001D2A4: 0BF534FA FF00AAFE
	v_mul_f32_dpp v251, v254, v155 quad_perm:[3,3,3,3] row_mask:0xf bank_mask:0xf// 00000001D2AC: 0BF736FA FF00FFFE
	v_mul_f32_dpp v252, v255, v156 quad_perm:[0,0,0,0] row_mask:0xf bank_mask:0xf// 00000001D2B4: 0BF938FA FF0000FF
	v_mul_f32_dpp v253, v255, v157 quad_perm:[1,1,1,1] row_mask:0xf bank_mask:0xf// 00000001D2BC: 0BFB3AFA FF0055FF
	v_mul_f32_dpp v254, v255, v158 quad_perm:[2,2,2,2] row_mask:0xf bank_mask:0xf// 00000001D2C4: 0BFD3CFA FF00AAFF
	v_mul_f32_dpp v255, v255, v159 quad_perm:[3,3,3,3] row_mask:0xf bank_mask:0xf// 00000001D2CC: 0BFF3EFA FF00FFFF
	v_mov_b32_e32 v48, 0x358637bd                              // 00000001D2D4: 7E6002FF 358637BD
	v_max3_f32 v48, |v240|, |v241|, v48                        // 00000001D2DC: D1D30330 04C3E3F0
	v_max3_f32 v48, |v242|, |v243|, v48                        // 00000001D2E4: D1D30330 04C3E7F2
	v_max3_f32 v48, |v244|, |v245|, v48                        // 00000001D2EC: D1D30330 04C3EBF4
	v_max3_f32 v48, |v246|, |v247|, v48                        // 00000001D2F4: D1D30330 04C3EFF6
	v_max3_f32 v48, |v248|, |v249|, v48                        // 00000001D2FC: D1D30330 04C3F3F8
	v_max3_f32 v48, |v250|, |v251|, v48                        // 00000001D304: D1D30330 04C3F7FA
	v_max3_f32 v48, |v252|, |v253|, v48                        // 00000001D30C: D1D30330 04C3FBFC
	v_max3_f32 v48, |v254|, |v255|, v48                        // 00000001D314: D1D30330 04C3FFFE
	ds_write_b32 v8, v48 offset:20992                          // 00000001D31C: D81A5200 00003008
	v_sub_f32_e32 v51, v13, v15                                // 00000001D324: 04661F0D
	v_cndmask_b32_e64 v51, v51, 0, s[40:41]                    // 00000001D328: D1000033 00A10133
	v_mov_b32_e32 v13, v15                                     // 00000001D330: 7E1A030F
	v_mul_f32_e32 v51, s64, v51                                // 00000001D334: 0A666640
	v_exp_f32_e32 v51, v51                                     // 00000001D338: 7E664133
	s_waitcnt lgkmcnt(0)                                       // 00000001D33C: BF8CC07F
	s_barrier                                                  // 00000001D340: BF8A0000
	ds_read_b32 v64, v7 offset:20992                           // 00000001D344: D86C5200 40000007
	ds_read_b32 v65, v7 offset:21056                           // 00000001D34C: D86C5240 41000007
	ds_read_b32 v66, v7 offset:21120                           // 00000001D354: D86C5280 42000007
	ds_read_b32 v67, v7 offset:21184                           // 00000001D35C: D86C52C0 43000007
	ds_read_b32 v68, v7 offset:21248                           // 00000001D364: D86C5300 44000007
	ds_read_b32 v69, v7 offset:21312                           // 00000001D36C: D86C5340 45000007
	ds_read_b32 v70, v7 offset:21376                           // 00000001D374: D86C5380 46000007
	ds_read_b32 v71, v7 offset:21440                           // 00000001D37C: D86C53C0 47000007
	ds_read_b32 v72, v7 offset:21504                           // 00000001D384: D86C5400 48000007
	ds_read_b32 v73, v7 offset:21568                           // 00000001D38C: D86C5440 49000007
	ds_read_b32 v74, v7 offset:21632                           // 00000001D394: D86C5480 4A000007
	ds_read_b32 v75, v7 offset:21696                           // 00000001D39C: D86C54C0 4B000007
	ds_read_b32 v76, v7 offset:21760                           // 00000001D3A4: D86C5500 4C000007
	ds_read_b32 v77, v7 offset:21824                           // 00000001D3AC: D86C5540 4D000007
	ds_read_b32 v78, v7 offset:21888                           // 00000001D3B4: D86C5580 4E000007
	ds_read_b32 v79, v7 offset:21952                           // 00000001D3BC: D86C55C0 4F000007
	v_mul_f32_e32 v40, v51, v40                                // 00000001D3C4: 0A505133
	v_mov_b32_e32 v15, v144                                    // 00000001D3C8: 7E1E0390
	v_add_f32_e32 v15, v145, v15                               // 00000001D3CC: 021E1F91
	v_add_f32_e32 v15, v146, v15                               // 00000001D3D0: 021E1F92
	v_add_f32_e32 v15, v147, v15                               // 00000001D3D4: 021E1F93
	v_add_f32_e32 v15, v148, v15                               // 00000001D3D8: 021E1F94
	v_add_f32_e32 v15, v149, v15                               // 00000001D3DC: 021E1F95
	v_add_f32_e32 v15, v150, v15                               // 00000001D3E0: 021E1F96
	v_add_f32_e32 v15, v151, v15                               // 00000001D3E4: 021E1F97
	v_add_f32_e32 v15, v152, v15                               // 00000001D3E8: 021E1F98
	v_add_f32_e32 v15, v153, v15                               // 00000001D3EC: 021E1F99
	v_add_f32_e32 v15, v154, v15                               // 00000001D3F0: 021E1F9A
	v_add_f32_e32 v15, v155, v15                               // 00000001D3F4: 021E1F9B
	v_add_f32_e32 v15, v156, v15                               // 00000001D3F8: 021E1F9C
	v_add_f32_e32 v15, v157, v15                               // 00000001D3FC: 021E1F9D
	v_add_f32_e32 v15, v158, v15                               // 00000001D400: 021E1F9E
	v_add_f32_e32 v15, v159, v15                               // 00000001D404: 021E1F9F
	v_add_f32_e32 v40, v15, v40                                // 00000001D408: 0250510F
	s_waitcnt lgkmcnt(0)                                       // 00000001D40C: BF8CC07F
	v_max3_f32 v48, |v64|, |v65|, v48                          // 00000001D410: D1D30330 04C28340
	v_max3_f32 v48, |v66|, |v67|, v48                          // 00000001D418: D1D30330 04C28742
	v_max3_f32 v48, |v68|, |v69|, v48                          // 00000001D420: D1D30330 04C28B44
	v_max3_f32 v48, |v70|, |v71|, v48                          // 00000001D428: D1D30330 04C28F46
	v_max3_f32 v48, |v72|, |v73|, v48                          // 00000001D430: D1D30330 04C29348
	v_max3_f32 v48, |v74|, |v75|, v48                          // 00000001D438: D1D30330 04C2974A
	v_max3_f32 v48, |v76|, |v77|, v48                          // 00000001D440: D1D30330 04C29B4C
	v_max3_f32 v48, |v78|, |v79|, v48                          // 00000001D448: D1D30330 04C29F4E
	s_nop 2                                                    // 00000001D450: BF800002
	v_rcp_f32_e32 v48, v48                                     // 00000001D454: 7E604530
	s_nop 1                                                    // 00000001D458: BF800001
	v_mul_f32_e32 v48, 0x42fe0000, v48                         // 00000001D45C: 0A6060FF 42FE0000
	v_mul_f32_e32 v144, v48, v240                              // 00000001D464: 0B21E130
	v_mul_f32_e32 v145, v48, v241                              // 00000001D468: 0B23E330
	v_mul_f32_e32 v146, v48, v242                              // 00000001D46C: 0B25E530
	v_mul_f32_e32 v147, v48, v243                              // 00000001D470: 0B27E730
	v_mul_f32_e32 v148, v48, v244                              // 00000001D474: 0B29E930
	v_mul_f32_e32 v149, v48, v245                              // 00000001D478: 0B2BEB30
	v_mul_f32_e32 v150, v48, v246                              // 00000001D47C: 0B2DED30
	v_mul_f32_e32 v151, v48, v247                              // 00000001D480: 0B2FEF30
	v_mul_f32_e32 v152, v48, v248                              // 00000001D484: 0B31F130
	v_mul_f32_e32 v153, v48, v249                              // 00000001D488: 0B33F330
	v_mul_f32_e32 v154, v48, v250                              // 00000001D48C: 0B35F530
	v_mul_f32_e32 v155, v48, v251                              // 00000001D490: 0B37F730
	v_mul_f32_e32 v156, v48, v252                              // 00000001D494: 0B39F930
	v_mul_f32_e32 v157, v48, v253                              // 00000001D498: 0B3BFB30
	v_mul_f32_e32 v158, v48, v254                              // 00000001D49C: 0B3DFD30
	v_mul_f32_e32 v159, v48, v255                              // 00000001D4A0: 0B3FFF30
	v_cvt_i32_f32_e32 v144, v144                               // 00000001D4A4: 7F201190
	v_cvt_i32_f32_e32 v145, v145                               // 00000001D4A8: 7F221191
	v_cvt_i32_f32_e32 v146, v146                               // 00000001D4AC: 7F241192
	v_cvt_i32_f32_e32 v147, v147                               // 00000001D4B0: 7F261193
	v_cvt_i32_f32_e32 v148, v148                               // 00000001D4B4: 7F281194
	v_cvt_i32_f32_e32 v149, v149                               // 00000001D4B8: 7F2A1195
	v_cvt_i32_f32_e32 v150, v150                               // 00000001D4BC: 7F2C1196
	v_cvt_i32_f32_e32 v151, v151                               // 00000001D4C0: 7F2E1197
	v_cvt_i32_f32_e32 v152, v152                               // 00000001D4C4: 7F301198
	v_cvt_i32_f32_e32 v153, v153                               // 00000001D4C8: 7F321199
	v_cvt_i32_f32_e32 v154, v154                               // 00000001D4CC: 7F34119A
	v_cvt_i32_f32_e32 v155, v155                               // 00000001D4D0: 7F36119B
	v_cvt_i32_f32_e32 v156, v156                               // 00000001D4D4: 7F38119C
	v_cvt_i32_f32_e32 v157, v157                               // 00000001D4D8: 7F3A119D
	v_cvt_i32_f32_e32 v158, v158                               // 00000001D4DC: 7F3C119E
	v_cvt_i32_f32_e32 v159, v159                               // 00000001D4E0: 7F3E119F
	v_perm_b32 v144, v145, v144, s53                           // 00000001D4E4: D1ED0090 00D72191
	v_perm_b32 v144, v146, v144, s54                           // 00000001D4EC: D1ED0090 00DB2192
	v_perm_b32 v144, v147, v144, s55                           // 00000001D4F4: D1ED0090 00DF2193
	v_perm_b32 v145, v149, v148, s53                           // 00000001D4FC: D1ED0091 00D72995
	v_perm_b32 v145, v150, v145, s54                           // 00000001D504: D1ED0091 00DB2396
	v_perm_b32 v145, v151, v145, s55                           // 00000001D50C: D1ED0091 00DF2397
	v_perm_b32 v146, v153, v152, s53                           // 00000001D514: D1ED0092 00D73199
	v_perm_b32 v146, v154, v146, s54                           // 00000001D51C: D1ED0092 00DB259A
	v_perm_b32 v146, v155, v146, s55                           // 00000001D524: D1ED0092 00DF259B
	v_perm_b32 v147, v157, v156, s53                           // 00000001D52C: D1ED0093 00D7399D
	v_perm_b32 v147, v158, v147, s54                           // 00000001D534: D1ED0093 00DB279E
	v_perm_b32 v147, v159, v147, s55                           // 00000001D53C: D1ED0093 00DF279F
	ds_write_b32 v10, v144 offset:33280                        // 00000001D544: D81A8200 0000900A
	ds_write_b32 v10, v145 offset:34304                        // 00000001D54C: D81A8600 0000910A
	ds_write_b32 v10, v146 offset:35328                        // 00000001D554: D81A8A00 0000920A
	ds_write_b32 v10, v147 offset:36352                        // 00000001D55C: D81A8E00 0000930A
	v_add_f32_e32 v224, v224, v192                             // 00000001D564: 03C181E0
	v_add_f32_e32 v225, v225, v193                             // 00000001D568: 03C383E1
	v_add_f32_e32 v226, v226, v194                             // 00000001D56C: 03C585E2
	v_add_f32_e32 v227, v227, v195                             // 00000001D570: 03C787E3
	v_add_f32_e32 v228, v228, v196                             // 00000001D574: 03C989E4
	v_add_f32_e32 v229, v229, v197                             // 00000001D578: 03CB8BE5
	v_add_f32_e32 v230, v230, v198                             // 00000001D57C: 03CD8DE6
	v_add_f32_e32 v231, v231, v199                             // 00000001D580: 03CF8FE7
	v_rcp_f32_e32 v46, v48                                     // 00000001D584: 7E5C4530
	s_waitcnt lgkmcnt(0)                                       // 00000001D588: BF8CC07F
	s_barrier                                                  // 00000001D58C: BF8A0000
	ds_read_b64 v[144:145], v9 offset:33280                    // 00000001D590: D8EC8200 90000009
	ds_read_b64 v[146:147], v9 offset:33408                    // 00000001D598: D8EC8280 92000009
	ds_read_b64 v[148:149], v9 offset:34304                    // 00000001D5A0: D8EC8600 94000009
	ds_read_b64 v[150:151], v9 offset:34432                    // 00000001D5A8: D8EC8680 96000009
	ds_read_b64 v[152:153], v9 offset:35328                    // 00000001D5B0: D8EC8A00 98000009
	ds_read_b64 v[154:155], v9 offset:35456                    // 00000001D5B8: D8EC8A80 9A000009
	ds_read_b64 v[156:157], v9 offset:36352                    // 00000001D5C0: D8EC8E00 9C000009
	ds_read_b64 v[158:159], v9 offset:36480                    // 00000001D5C8: D8EC8E80 9E000009
	v_mov_b32_dpp v64, v42 row_shr:4 row_mask:0xf bank_mask:0xf// 00000001D5D0: 7E8002FA FF01142A
	v_mov_b32_dpp v65, v42 row_shl:4 row_mask:0xf bank_mask:0xf// 00000001D5D8: 7E8202FA FF01042A
	v_cndmask_b32_e64 v248, v42, v64, s[44:45]                 // 00000001D5E0: D10000F8 00B2812A
	v_cndmask_b32_e64 v249, v65, v42, s[44:45]                 // 00000001D5E8: D10000F9 00B25541
	v_mov_b32_dpp v64, v248 row_shr:8 row_mask:0xf bank_mask:0xf// 00000001D5F0: 7E8002FA FF0118F8
	v_mov_b32_dpp v65, v248 row_shl:8 row_mask:0xf bank_mask:0xf// 00000001D5F8: 7E8202FA FF0108F8
	v_mov_b32_dpp v66, v249 row_shr:8 row_mask:0xf bank_mask:0xf// 00000001D600: 7E8402FA FF0118F9
	v_mov_b32_dpp v67, v249 row_shl:8 row_mask:0xf bank_mask:0xf// 00000001D608: 7E8602FA FF0108F9
	v_mov_b32_e32 v68, v248                                    // 00000001D610: 7E8803F8
	v_mov_b32_e32 v69, v249                                    // 00000001D614: 7E8A03F9
	v_cndmask_b32_e64 v248, v68, v64, s[42:43]                 // 00000001D618: D10000F8 00AA8144
	v_cndmask_b32_e64 v250, v68, v65, s[78:79]                 // 00000001D620: D10000FA 013A8344
	v_cndmask_b32_e64 v249, v69, v66, s[42:43]                 // 00000001D628: D10000F9 00AA8545
	v_cndmask_b32_e64 v251, v69, v67, s[78:79]                 // 00000001D630: D10000FB 013A8745
	v_mov_b32_dpp v64, v57 row_shr:4 row_mask:0xf bank_mask:0xf// 00000001D638: 7E8002FA FF011439
	v_mov_b32_dpp v65, v57 row_shl:4 row_mask:0xf bank_mask:0xf// 00000001D640: 7E8202FA FF010439
	v_cndmask_b32_e64 v252, v57, v64, s[44:45]                 // 00000001D648: D10000FC 00B28139
	v_cndmask_b32_e64 v253, v65, v57, s[44:45]                 // 00000001D650: D10000FD 00B27341
	v_mov_b32_dpp v64, v252 row_shr:8 row_mask:0xf bank_mask:0xf// 00000001D658: 7E8002FA FF0118FC
	v_mov_b32_dpp v65, v252 row_shl:8 row_mask:0xf bank_mask:0xf// 00000001D660: 7E8202FA FF0108FC
	v_mov_b32_dpp v66, v253 row_shr:8 row_mask:0xf bank_mask:0xf// 00000001D668: 7E8402FA FF0118FD
	v_mov_b32_dpp v67, v253 row_shl:8 row_mask:0xf bank_mask:0xf// 00000001D670: 7E8602FA FF0108FD
	v_mov_b32_e32 v68, v252                                    // 00000001D678: 7E8803FC
	v_mov_b32_e32 v69, v253                                    // 00000001D67C: 7E8A03FD
	v_cndmask_b32_e64 v252, v68, v64, s[42:43]                 // 00000001D680: D10000FC 00AA8144
	v_cndmask_b32_e64 v254, v68, v65, s[78:79]                 // 00000001D688: D10000FE 013A8344
	v_cndmask_b32_e64 v253, v69, v66, s[42:43]                 // 00000001D690: D10000FD 00AA8545
	v_cndmask_b32_e64 v255, v69, v67, s[78:79]                 // 00000001D698: D10000FF 013A8745
	v_cvt_f32_i32_e32 v160, v160                               // 00000001D6A0: 7F400BA0
	v_cvt_f32_i32_e32 v161, v161                               // 00000001D6A4: 7F420BA1
	v_cvt_f32_i32_e32 v162, v162                               // 00000001D6A8: 7F440BA2
	v_cvt_f32_i32_e32 v163, v163                               // 00000001D6AC: 7F460BA3
	v_cvt_f32_i32_e32 v164, v164                               // 00000001D6B0: 7F480BA4
	v_cvt_f32_i32_e32 v165, v165                               // 00000001D6B4: 7F4A0BA5
	v_cvt_f32_i32_e32 v166, v166                               // 00000001D6B8: 7F4C0BA6
	v_cvt_f32_i32_e32 v167, v167                               // 00000001D6BC: 7F4E0BA7
	v_cvt_f32_i32_e32 v168, v168                               // 00000001D6C0: 7F500BA8
	v_cvt_f32_i32_e32 v169, v169                               // 00000001D6C4: 7F520BA9
	v_cvt_f32_i32_e32 v170, v170                               // 00000001D6C8: 7F540BAA
	v_cvt_f32_i32_e32 v171, v171                               // 00000001D6CC: 7F560BAB
	v_cvt_f32_i32_e32 v172, v172                               // 00000001D6D0: 7F580BAC
	v_cvt_f32_i32_e32 v173, v173                               // 00000001D6D4: 7F5A0BAD
	v_cvt_f32_i32_e32 v174, v174                               // 00000001D6D8: 7F5C0BAE
	v_cvt_f32_i32_e32 v175, v175                               // 00000001D6DC: 7F5E0BAF
	v_mul_f32_e32 v160, v21, v160                              // 00000001D6E0: 0B414115
	v_mul_f32_e32 v161, v21, v161                              // 00000001D6E4: 0B434315
	v_mul_f32_e32 v162, v21, v162                              // 00000001D6E8: 0B454515
	v_mul_f32_e32 v163, v21, v163                              // 00000001D6EC: 0B474715
	v_mul_f32_e32 v164, v21, v164                              // 00000001D6F0: 0B494915
	v_mul_f32_e32 v165, v21, v165                              // 00000001D6F4: 0B4B4B15
	v_mul_f32_e32 v166, v21, v166                              // 00000001D6F8: 0B4D4D15
	v_mul_f32_e32 v167, v21, v167                              // 00000001D6FC: 0B4F4F15
	v_mul_f32_e32 v168, v21, v168                              // 00000001D700: 0B515115
	v_mul_f32_e32 v169, v21, v169                              // 00000001D704: 0B535315
	v_mul_f32_e32 v170, v21, v170                              // 00000001D708: 0B555515
	v_mul_f32_e32 v171, v21, v171                              // 00000001D70C: 0B575715
	v_mul_f32_e32 v172, v21, v172                              // 00000001D710: 0B595915
	v_mul_f32_e32 v173, v21, v173                              // 00000001D714: 0B5B5B15
	v_mul_f32_e32 v174, v21, v174                              // 00000001D718: 0B5D5D15
	v_mul_f32_e32 v175, v21, v175                              // 00000001D71C: 0B5F5F15
	v_mul_f32_dpp v160, v248, v160 quad_perm:[0,0,0,0] row_mask:0xf bank_mask:0xf// 00000001D720: 0B4140FA FF0000F8
	v_mul_f32_dpp v161, v248, v161 quad_perm:[1,1,1,1] row_mask:0xf bank_mask:0xf// 00000001D728: 0B4342FA FF0055F8
	v_mul_f32_dpp v162, v248, v162 quad_perm:[2,2,2,2] row_mask:0xf bank_mask:0xf// 00000001D730: 0B4544FA FF00AAF8
	v_mul_f32_dpp v163, v248, v163 quad_perm:[3,3,3,3] row_mask:0xf bank_mask:0xf// 00000001D738: 0B4746FA FF00FFF8
	v_mul_f32_dpp v164, v249, v164 quad_perm:[0,0,0,0] row_mask:0xf bank_mask:0xf// 00000001D740: 0B4948FA FF0000F9
	v_mul_f32_dpp v165, v249, v165 quad_perm:[1,1,1,1] row_mask:0xf bank_mask:0xf// 00000001D748: 0B4B4AFA FF0055F9
	v_mul_f32_dpp v166, v249, v166 quad_perm:[2,2,2,2] row_mask:0xf bank_mask:0xf// 00000001D750: 0B4D4CFA FF00AAF9
	v_mul_f32_dpp v167, v249, v167 quad_perm:[3,3,3,3] row_mask:0xf bank_mask:0xf// 00000001D758: 0B4F4EFA FF00FFF9
	v_mul_f32_dpp v168, v250, v168 quad_perm:[0,0,0,0] row_mask:0xf bank_mask:0xf// 00000001D760: 0B5150FA FF0000FA
	v_mul_f32_dpp v169, v250, v169 quad_perm:[1,1,1,1] row_mask:0xf bank_mask:0xf// 00000001D768: 0B5352FA FF0055FA
	v_mul_f32_dpp v170, v250, v170 quad_perm:[2,2,2,2] row_mask:0xf bank_mask:0xf// 00000001D770: 0B5554FA FF00AAFA
	v_mul_f32_dpp v171, v250, v171 quad_perm:[3,3,3,3] row_mask:0xf bank_mask:0xf// 00000001D778: 0B5756FA FF00FFFA
	v_mul_f32_dpp v172, v251, v172 quad_perm:[0,0,0,0] row_mask:0xf bank_mask:0xf// 00000001D780: 0B5958FA FF0000FB
	v_mul_f32_dpp v173, v251, v173 quad_perm:[1,1,1,1] row_mask:0xf bank_mask:0xf// 00000001D788: 0B5B5AFA FF0055FB
	v_mul_f32_dpp v174, v251, v174 quad_perm:[2,2,2,2] row_mask:0xf bank_mask:0xf// 00000001D790: 0B5D5CFA FF00AAFB
	v_mul_f32_dpp v175, v251, v175 quad_perm:[3,3,3,3] row_mask:0xf bank_mask:0xf// 00000001D798: 0B5F5EFA FF00FFFB
	v_mov_b32_e32 v48, v160                                    // 00000001D7A0: 7E6003A0
	v_max3_f32 v48, v160, v161, v48                            // 00000001D7A4: D1D30030 04C343A0
	v_max3_f32 v48, v162, v163, v48                            // 00000001D7AC: D1D30030 04C347A2
	v_max3_f32 v48, v164, v165, v48                            // 00000001D7B4: D1D30030 04C34BA4
	v_max3_f32 v48, v166, v167, v48                            // 00000001D7BC: D1D30030 04C34FA6
	v_max3_f32 v48, v168, v169, v48                            // 00000001D7C4: D1D30030 04C353A8
	v_max3_f32 v48, v170, v171, v48                            // 00000001D7CC: D1D30030 04C357AA
	v_max3_f32 v48, v172, v173, v48                            // 00000001D7D4: D1D30030 04C35BAC
	v_max3_f32 v48, v174, v175, v48                            // 00000001D7DC: D1D30030 04C35FAE
	ds_write_b32 v8, v48 offset:16896                          // 00000001D7E4: D81A4200 00003008
	v_mul_f32_e32 v232, v52, v232                              // 00000001D7EC: 0BD1D134
	v_mul_f32_e32 v233, v52, v233                              // 00000001D7F0: 0BD3D334
	v_mul_f32_e32 v234, v52, v234                              // 00000001D7F4: 0BD5D534
	v_mul_f32_e32 v235, v52, v235                              // 00000001D7F8: 0BD7D734
	v_mul_f32_e32 v236, v52, v236                              // 00000001D7FC: 0BD9D934
	v_mul_f32_e32 v237, v52, v237                              // 00000001D800: 0BDBDB34
	v_mul_f32_e32 v238, v52, v238                              // 00000001D804: 0BDDDD34
	v_mul_f32_e32 v239, v52, v239                              // 00000001D808: 0BDFDF34
	s_waitcnt lgkmcnt(0)                                       // 00000001D80C: BF8CC07F
	s_barrier                                                  // 00000001D810: BF8A0000
	ds_read_b32 v64, v7 offset:16896                           // 00000001D814: D86C4200 40000007
	ds_read_b32 v65, v7 offset:16960                           // 00000001D81C: D86C4240 41000007
	ds_read_b32 v66, v7 offset:17024                           // 00000001D824: D86C4280 42000007
	ds_read_b32 v67, v7 offset:17088                           // 00000001D82C: D86C42C0 43000007
	ds_read_b32 v68, v7 offset:17152                           // 00000001D834: D86C4300 44000007
	ds_read_b32 v69, v7 offset:17216                           // 00000001D83C: D86C4340 45000007
	ds_read_b32 v70, v7 offset:17280                           // 00000001D844: D86C4380 46000007
	ds_read_b32 v71, v7 offset:17344                           // 00000001D84C: D86C43C0 47000007
	ds_read_b32 v72, v7 offset:17408                           // 00000001D854: D86C4400 48000007
	ds_read_b32 v73, v7 offset:17472                           // 00000001D85C: D86C4440 49000007
	ds_read_b32 v74, v7 offset:17536                           // 00000001D864: D86C4480 4A000007
	ds_read_b32 v75, v7 offset:17600                           // 00000001D86C: D86C44C0 4B000007
	ds_read_b32 v76, v7 offset:17664                           // 00000001D874: D86C4500 4C000007
	ds_read_b32 v77, v7 offset:17728                           // 00000001D87C: D86C4540 4D000007
	ds_read_b32 v78, v7 offset:17792                           // 00000001D884: D86C4580 4E000007
	ds_read_b32 v79, v7 offset:17856                           // 00000001D88C: D86C45C0 4F000007
	v_cvt_f32_i32_e32 v200, v200                               // 00000001D894: 7F900BC8
	v_cvt_f32_i32_e32 v201, v201                               // 00000001D898: 7F920BC9
	v_cvt_f32_i32_e32 v202, v202                               // 00000001D89C: 7F940BCA
	v_cvt_f32_i32_e32 v203, v203                               // 00000001D8A0: 7F960BCB
	v_cvt_f32_i32_e32 v204, v204                               // 00000001D8A4: 7F980BCC
	v_cvt_f32_i32_e32 v205, v205                               // 00000001D8A8: 7F9A0BCD
	v_cvt_f32_i32_e32 v206, v206                               // 00000001D8AC: 7F9C0BCE
	v_cvt_f32_i32_e32 v207, v207                               // 00000001D8B0: 7F9E0BCF
	v_mul_f32_e32 v200, v47, v200                              // 00000001D8B4: 0B91912F
	v_mul_f32_e32 v201, v47, v201                              // 00000001D8B8: 0B93932F
	v_mul_f32_e32 v202, v47, v202                              // 00000001D8BC: 0B95952F
	v_mul_f32_e32 v203, v47, v203                              // 00000001D8C0: 0B97972F
	v_mul_f32_e32 v204, v47, v204                              // 00000001D8C4: 0B99992F
	v_mul_f32_e32 v205, v47, v205                              // 00000001D8C8: 0B9B9B2F
	v_mul_f32_e32 v206, v47, v206                              // 00000001D8CC: 0B9D9D2F
	v_mul_f32_e32 v207, v47, v207                              // 00000001D8D0: 0B9F9F2F
	s_waitcnt lgkmcnt(0)                                       // 00000001D8D4: BF8CC07F
	v_max3_f32 v48, v64, v65, v48                              // 00000001D8D8: D1D30030 04C28340
	v_max3_f32 v48, v66, v67, v48                              // 00000001D8E0: D1D30030 04C28742
	v_max3_f32 v48, v68, v69, v48                              // 00000001D8E8: D1D30030 04C28B44
	v_max3_f32 v48, v70, v71, v48                              // 00000001D8F0: D1D30030 04C28F46
	v_max3_f32 v48, v72, v73, v48                              // 00000001D8F8: D1D30030 04C29348
	v_max3_f32 v48, v74, v75, v48                              // 00000001D900: D1D30030 04C2974A
	v_max3_f32 v48, v76, v77, v48                              // 00000001D908: D1D30030 04C29B4C
	v_max3_f32 v48, v78, v79, v48                              // 00000001D910: D1D30030 04C29F4E
	v_mov_b32_e32 v64, 0xff800000                              // 00000001D918: 7E8002FF FF800000
	v_cmp_eq_u32_e64 s[40:41], v64, v14                        // 00000001D920: D0CA0028 00021D40
	s_nop 1                                                    // 00000001D928: BF800001
	v_max_f32_e32 v15, v48, v14                                // 00000001D92C: 161E1D30
	v_mul_f32_e32 v53, s64, v15                                // 00000001D930: 0A6A1E40
	v_fma_f32 v160, v160, s64, -v53                            // 00000001D934: D1CB00A0 84D481A0
	v_fma_f32 v161, v161, s64, -v53                            // 00000001D93C: D1CB00A1 84D481A1
	v_fma_f32 v162, v162, s64, -v53                            // 00000001D944: D1CB00A2 84D481A2
	v_fma_f32 v163, v163, s64, -v53                            // 00000001D94C: D1CB00A3 84D481A3
	v_fma_f32 v164, v164, s64, -v53                            // 00000001D954: D1CB00A4 84D481A4
	v_fma_f32 v165, v165, s64, -v53                            // 00000001D95C: D1CB00A5 84D481A5
	v_fma_f32 v166, v166, s64, -v53                            // 00000001D964: D1CB00A6 84D481A6
	v_fma_f32 v167, v167, s64, -v53                            // 00000001D96C: D1CB00A7 84D481A7
	v_fma_f32 v168, v168, s64, -v53                            // 00000001D974: D1CB00A8 84D481A8
	v_fma_f32 v169, v169, s64, -v53                            // 00000001D97C: D1CB00A9 84D481A9
	v_fma_f32 v170, v170, s64, -v53                            // 00000001D984: D1CB00AA 84D481AA
	v_fma_f32 v171, v171, s64, -v53                            // 00000001D98C: D1CB00AB 84D481AB
	v_fma_f32 v172, v172, s64, -v53                            // 00000001D994: D1CB00AC 84D481AC
	v_fma_f32 v173, v173, s64, -v53                            // 00000001D99C: D1CB00AD 84D481AD
	v_fma_f32 v174, v174, s64, -v53                            // 00000001D9A4: D1CB00AE 84D481AE
	v_fma_f32 v175, v175, s64, -v53                            // 00000001D9AC: D1CB00AF 84D481AF
	v_exp_f32_e32 v160, v160                                   // 00000001D9B4: 7F4041A0
	v_exp_f32_e32 v161, v161                                   // 00000001D9B8: 7F4241A1
	v_exp_f32_e32 v162, v162                                   // 00000001D9BC: 7F4441A2
	v_exp_f32_e32 v163, v163                                   // 00000001D9C0: 7F4641A3
	v_exp_f32_e32 v164, v164                                   // 00000001D9C4: 7F4841A4
	v_exp_f32_e32 v165, v165                                   // 00000001D9C8: 7F4A41A5
	v_exp_f32_e32 v166, v166                                   // 00000001D9CC: 7F4C41A6
	v_exp_f32_e32 v167, v167                                   // 00000001D9D0: 7F4E41A7
	v_exp_f32_e32 v168, v168                                   // 00000001D9D4: 7F5041A8
	v_exp_f32_e32 v169, v169                                   // 00000001D9D8: 7F5241A9
	v_exp_f32_e32 v170, v170                                   // 00000001D9DC: 7F5441AA
	v_exp_f32_e32 v171, v171                                   // 00000001D9E0: 7F5641AB
	v_exp_f32_e32 v172, v172                                   // 00000001D9E4: 7F5841AC
	v_exp_f32_e32 v173, v173                                   // 00000001D9E8: 7F5A41AD
	v_exp_f32_e32 v174, v174                                   // 00000001D9EC: 7F5C41AE
	v_exp_f32_e32 v175, v175                                   // 00000001D9F0: 7F5E41AF
	v_mul_f32_dpp v240, v252, v160 quad_perm:[0,0,0,0] row_mask:0xf bank_mask:0xf// 00000001D9F4: 0BE140FA FF0000FC
	v_mul_f32_dpp v241, v252, v161 quad_perm:[1,1,1,1] row_mask:0xf bank_mask:0xf// 00000001D9FC: 0BE342FA FF0055FC
	v_mul_f32_dpp v242, v252, v162 quad_perm:[2,2,2,2] row_mask:0xf bank_mask:0xf// 00000001DA04: 0BE544FA FF00AAFC
	v_mul_f32_dpp v243, v252, v163 quad_perm:[3,3,3,3] row_mask:0xf bank_mask:0xf// 00000001DA0C: 0BE746FA FF00FFFC
	v_mul_f32_dpp v244, v253, v164 quad_perm:[0,0,0,0] row_mask:0xf bank_mask:0xf// 00000001DA14: 0BE948FA FF0000FD
	v_mul_f32_dpp v245, v253, v165 quad_perm:[1,1,1,1] row_mask:0xf bank_mask:0xf// 00000001DA1C: 0BEB4AFA FF0055FD
	v_mul_f32_dpp v246, v253, v166 quad_perm:[2,2,2,2] row_mask:0xf bank_mask:0xf// 00000001DA24: 0BED4CFA FF00AAFD
	v_mul_f32_dpp v247, v253, v167 quad_perm:[3,3,3,3] row_mask:0xf bank_mask:0xf// 00000001DA2C: 0BEF4EFA FF00FFFD
	v_mul_f32_dpp v248, v254, v168 quad_perm:[0,0,0,0] row_mask:0xf bank_mask:0xf// 00000001DA34: 0BF150FA FF0000FE
	v_mul_f32_dpp v249, v254, v169 quad_perm:[1,1,1,1] row_mask:0xf bank_mask:0xf// 00000001DA3C: 0BF352FA FF0055FE
	v_mul_f32_dpp v250, v254, v170 quad_perm:[2,2,2,2] row_mask:0xf bank_mask:0xf// 00000001DA44: 0BF554FA FF00AAFE
	v_mul_f32_dpp v251, v254, v171 quad_perm:[3,3,3,3] row_mask:0xf bank_mask:0xf// 00000001DA4C: 0BF756FA FF00FFFE
	v_mul_f32_dpp v252, v255, v172 quad_perm:[0,0,0,0] row_mask:0xf bank_mask:0xf// 00000001DA54: 0BF958FA FF0000FF
	v_mul_f32_dpp v253, v255, v173 quad_perm:[1,1,1,1] row_mask:0xf bank_mask:0xf// 00000001DA5C: 0BFB5AFA FF0055FF
	v_mul_f32_dpp v254, v255, v174 quad_perm:[2,2,2,2] row_mask:0xf bank_mask:0xf// 00000001DA64: 0BFD5CFA FF00AAFF
	v_mul_f32_dpp v255, v255, v175 quad_perm:[3,3,3,3] row_mask:0xf bank_mask:0xf// 00000001DA6C: 0BFF5EFA FF00FFFF
	v_mov_b32_e32 v48, 0x358637bd                              // 00000001DA74: 7E6002FF 358637BD
	v_max3_f32 v48, |v240|, |v241|, v48                        // 00000001DA7C: D1D30330 04C3E3F0
	v_max3_f32 v48, |v242|, |v243|, v48                        // 00000001DA84: D1D30330 04C3E7F2
	v_max3_f32 v48, |v244|, |v245|, v48                        // 00000001DA8C: D1D30330 04C3EBF4
	v_max3_f32 v48, |v246|, |v247|, v48                        // 00000001DA94: D1D30330 04C3EFF6
	v_max3_f32 v48, |v248|, |v249|, v48                        // 00000001DA9C: D1D30330 04C3F3F8
	v_max3_f32 v48, |v250|, |v251|, v48                        // 00000001DAA4: D1D30330 04C3F7FA
	v_max3_f32 v48, |v252|, |v253|, v48                        // 00000001DAAC: D1D30330 04C3FBFC
	v_max3_f32 v48, |v254|, |v255|, v48                        // 00000001DAB4: D1D30330 04C3FFFE
	ds_write_b32 v8, v48 offset:20992                          // 00000001DABC: D81A5200 00003008
	v_sub_f32_e32 v52, v14, v15                                // 00000001DAC4: 04681F0E
	v_cndmask_b32_e64 v52, v52, 0, s[40:41]                    // 00000001DAC8: D1000034 00A10134
	v_mov_b32_e32 v14, v15                                     // 00000001DAD0: 7E1C030F
	v_mul_f32_e32 v52, s64, v52                                // 00000001DAD4: 0A686840
	v_exp_f32_e32 v52, v52                                     // 00000001DAD8: 7E684134
	s_waitcnt lgkmcnt(0)                                       // 00000001DADC: BF8CC07F
	s_barrier                                                  // 00000001DAE0: BF8A0000
	ds_read_b32 v64, v7 offset:20992                           // 00000001DAE4: D86C5200 40000007
	ds_read_b32 v65, v7 offset:21056                           // 00000001DAEC: D86C5240 41000007
	ds_read_b32 v66, v7 offset:21120                           // 00000001DAF4: D86C5280 42000007
	ds_read_b32 v67, v7 offset:21184                           // 00000001DAFC: D86C52C0 43000007
	ds_read_b32 v68, v7 offset:21248                           // 00000001DB04: D86C5300 44000007
	ds_read_b32 v69, v7 offset:21312                           // 00000001DB0C: D86C5340 45000007
	ds_read_b32 v70, v7 offset:21376                           // 00000001DB14: D86C5380 46000007
	ds_read_b32 v71, v7 offset:21440                           // 00000001DB1C: D86C53C0 47000007
	ds_read_b32 v72, v7 offset:21504                           // 00000001DB24: D86C5400 48000007
	ds_read_b32 v73, v7 offset:21568                           // 00000001DB2C: D86C5440 49000007
	ds_read_b32 v74, v7 offset:21632                           // 00000001DB34: D86C5480 4A000007
	ds_read_b32 v75, v7 offset:21696                           // 00000001DB3C: D86C54C0 4B000007
	ds_read_b32 v76, v7 offset:21760                           // 00000001DB44: D86C5500 4C000007
	ds_read_b32 v77, v7 offset:21824                           // 00000001DB4C: D86C5540 4D000007
	ds_read_b32 v78, v7 offset:21888                           // 00000001DB54: D86C5580 4E000007
	ds_read_b32 v79, v7 offset:21952                           // 00000001DB5C: D86C55C0 4F000007
	v_mul_f32_e32 v41, v52, v41                                // 00000001DB64: 0A525334
	v_mov_b32_e32 v15, v160                                    // 00000001DB68: 7E1E03A0
	v_add_f32_e32 v15, v161, v15                               // 00000001DB6C: 021E1FA1
	v_add_f32_e32 v15, v162, v15                               // 00000001DB70: 021E1FA2
	v_add_f32_e32 v15, v163, v15                               // 00000001DB74: 021E1FA3
	v_add_f32_e32 v15, v164, v15                               // 00000001DB78: 021E1FA4
	v_add_f32_e32 v15, v165, v15                               // 00000001DB7C: 021E1FA5
	v_add_f32_e32 v15, v166, v15                               // 00000001DB80: 021E1FA6
	v_add_f32_e32 v15, v167, v15                               // 00000001DB84: 021E1FA7
	v_add_f32_e32 v15, v168, v15                               // 00000001DB88: 021E1FA8
	v_add_f32_e32 v15, v169, v15                               // 00000001DB8C: 021E1FA9
	v_add_f32_e32 v15, v170, v15                               // 00000001DB90: 021E1FAA
	v_add_f32_e32 v15, v171, v15                               // 00000001DB94: 021E1FAB
	v_add_f32_e32 v15, v172, v15                               // 00000001DB98: 021E1FAC
	v_add_f32_e32 v15, v173, v15                               // 00000001DB9C: 021E1FAD
	v_add_f32_e32 v15, v174, v15                               // 00000001DBA0: 021E1FAE
	v_add_f32_e32 v15, v175, v15                               // 00000001DBA4: 021E1FAF
	v_add_f32_e32 v41, v15, v41                                // 00000001DBA8: 0252530F
	s_waitcnt lgkmcnt(0)                                       // 00000001DBAC: BF8CC07F
	v_max3_f32 v48, |v64|, |v65|, v48                          // 00000001DBB0: D1D30330 04C28340
	v_max3_f32 v48, |v66|, |v67|, v48                          // 00000001DBB8: D1D30330 04C28742
	v_max3_f32 v48, |v68|, |v69|, v48                          // 00000001DBC0: D1D30330 04C28B44
	v_max3_f32 v48, |v70|, |v71|, v48                          // 00000001DBC8: D1D30330 04C28F46
	v_max3_f32 v48, |v72|, |v73|, v48                          // 00000001DBD0: D1D30330 04C29348
	v_max3_f32 v48, |v74|, |v75|, v48                          // 00000001DBD8: D1D30330 04C2974A
	v_max3_f32 v48, |v76|, |v77|, v48                          // 00000001DBE0: D1D30330 04C29B4C
	v_max3_f32 v48, |v78|, |v79|, v48                          // 00000001DBE8: D1D30330 04C29F4E
	s_nop 2                                                    // 00000001DBF0: BF800002
	v_rcp_f32_e32 v48, v48                                     // 00000001DBF4: 7E604530
	s_nop 1                                                    // 00000001DBF8: BF800001
	v_mul_f32_e32 v48, 0x42fe0000, v48                         // 00000001DBFC: 0A6060FF 42FE0000
	v_mul_f32_e32 v160, v48, v240                              // 00000001DC04: 0B41E130
	v_mul_f32_e32 v161, v48, v241                              // 00000001DC08: 0B43E330
	v_mul_f32_e32 v162, v48, v242                              // 00000001DC0C: 0B45E530
	v_mul_f32_e32 v163, v48, v243                              // 00000001DC10: 0B47E730
	v_mul_f32_e32 v164, v48, v244                              // 00000001DC14: 0B49E930
	v_mul_f32_e32 v165, v48, v245                              // 00000001DC18: 0B4BEB30
	v_mul_f32_e32 v166, v48, v246                              // 00000001DC1C: 0B4DED30
	v_mul_f32_e32 v167, v48, v247                              // 00000001DC20: 0B4FEF30
	v_mul_f32_e32 v168, v48, v248                              // 00000001DC24: 0B51F130
	v_mul_f32_e32 v169, v48, v249                              // 00000001DC28: 0B53F330
	v_mul_f32_e32 v170, v48, v250                              // 00000001DC2C: 0B55F530
	v_mul_f32_e32 v171, v48, v251                              // 00000001DC30: 0B57F730
	v_mul_f32_e32 v172, v48, v252                              // 00000001DC34: 0B59F930
	v_mul_f32_e32 v173, v48, v253                              // 00000001DC38: 0B5BFB30
	v_mul_f32_e32 v174, v48, v254                              // 00000001DC3C: 0B5DFD30
	v_mul_f32_e32 v175, v48, v255                              // 00000001DC40: 0B5FFF30
	v_cvt_i32_f32_e32 v160, v160                               // 00000001DC44: 7F4011A0
	v_cvt_i32_f32_e32 v161, v161                               // 00000001DC48: 7F4211A1
	v_cvt_i32_f32_e32 v162, v162                               // 00000001DC4C: 7F4411A2
	v_cvt_i32_f32_e32 v163, v163                               // 00000001DC50: 7F4611A3
	v_cvt_i32_f32_e32 v164, v164                               // 00000001DC54: 7F4811A4
	v_cvt_i32_f32_e32 v165, v165                               // 00000001DC58: 7F4A11A5
	v_cvt_i32_f32_e32 v166, v166                               // 00000001DC5C: 7F4C11A6
	v_cvt_i32_f32_e32 v167, v167                               // 00000001DC60: 7F4E11A7
	v_cvt_i32_f32_e32 v168, v168                               // 00000001DC64: 7F5011A8
	v_cvt_i32_f32_e32 v169, v169                               // 00000001DC68: 7F5211A9
	v_cvt_i32_f32_e32 v170, v170                               // 00000001DC6C: 7F5411AA
	v_cvt_i32_f32_e32 v171, v171                               // 00000001DC70: 7F5611AB
	v_cvt_i32_f32_e32 v172, v172                               // 00000001DC74: 7F5811AC
	v_cvt_i32_f32_e32 v173, v173                               // 00000001DC78: 7F5A11AD
	v_cvt_i32_f32_e32 v174, v174                               // 00000001DC7C: 7F5C11AE
	v_cvt_i32_f32_e32 v175, v175                               // 00000001DC80: 7F5E11AF
	v_perm_b32 v160, v161, v160, s53                           // 00000001DC84: D1ED00A0 00D741A1
	v_perm_b32 v160, v162, v160, s54                           // 00000001DC8C: D1ED00A0 00DB41A2
	v_perm_b32 v160, v163, v160, s55                           // 00000001DC94: D1ED00A0 00DF41A3
	v_perm_b32 v161, v165, v164, s53                           // 00000001DC9C: D1ED00A1 00D749A5
	v_perm_b32 v161, v166, v161, s54                           // 00000001DCA4: D1ED00A1 00DB43A6
	v_perm_b32 v161, v167, v161, s55                           // 00000001DCAC: D1ED00A1 00DF43A7
	v_perm_b32 v162, v169, v168, s53                           // 00000001DCB4: D1ED00A2 00D751A9
	v_perm_b32 v162, v170, v162, s54                           // 00000001DCBC: D1ED00A2 00DB45AA
	v_perm_b32 v162, v171, v162, s55                           // 00000001DCC4: D1ED00A2 00DF45AB
	v_perm_b32 v163, v173, v172, s53                           // 00000001DCCC: D1ED00A3 00D759AD
	v_perm_b32 v163, v174, v163, s54                           // 00000001DCD4: D1ED00A3 00DB47AE
	v_perm_b32 v163, v175, v163, s55                           // 00000001DCDC: D1ED00A3 00DF47AF
	ds_write_b32 v10, v160 offset:37376                        // 00000001DCE4: D81A9200 0000A00A
	ds_write_b32 v10, v161 offset:38400                        // 00000001DCEC: D81A9600 0000A10A
	ds_write_b32 v10, v162 offset:39424                        // 00000001DCF4: D81A9A00 0000A20A
	ds_write_b32 v10, v163 offset:40448                        // 00000001DCFC: D81A9E00 0000A30A
	v_add_f32_e32 v232, v232, v200                             // 00000001DD04: 03D191E8
	v_add_f32_e32 v233, v233, v201                             // 00000001DD08: 03D393E9
	v_add_f32_e32 v234, v234, v202                             // 00000001DD0C: 03D595EA
	v_add_f32_e32 v235, v235, v203                             // 00000001DD10: 03D797EB
	v_add_f32_e32 v236, v236, v204                             // 00000001DD14: 03D999EC
	v_add_f32_e32 v237, v237, v205                             // 00000001DD18: 03DB9BED
	v_add_f32_e32 v238, v238, v206                             // 00000001DD1C: 03DD9DEE
	v_add_f32_e32 v239, v239, v207                             // 00000001DD20: 03DF9FEF
	v_rcp_f32_e32 v47, v48                                     // 00000001DD24: 7E5E4530
	s_waitcnt lgkmcnt(0)                                       // 00000001DD28: BF8CC07F
	s_barrier                                                  // 00000001DD2C: BF8A0000
	ds_read_b64 v[160:161], v9 offset:37376                    // 00000001DD30: D8EC9200 A0000009
	ds_read_b64 v[162:163], v9 offset:37504                    // 00000001DD38: D8EC9280 A2000009
	ds_read_b64 v[164:165], v9 offset:38400                    // 00000001DD40: D8EC9600 A4000009
	ds_read_b64 v[166:167], v9 offset:38528                    // 00000001DD48: D8EC9680 A6000009
	ds_read_b64 v[168:169], v9 offset:39424                    // 00000001DD50: D8EC9A00 A8000009
	ds_read_b64 v[170:171], v9 offset:39552                    // 00000001DD58: D8EC9A80 AA000009
	ds_read_b64 v[172:173], v9 offset:40448                    // 00000001DD60: D8EC9E00 AC000009
	ds_read_b64 v[174:175], v9 offset:40576                    // 00000001DD68: D8EC9E80 AE000009
	s_waitcnt vmcnt(15)                                        // 00000001DD70: BF8C0F7F
	v_mfma_i32_16x16x32_i8 v[176:179], a[64:65], v[112:113], 0 // 00000001DD74: D3D700B0 0A02E140
	v_mfma_i32_16x16x32_i8 v[176:179], a[66:67], v[114:115], v[176:179]// 00000001DD7C: D3D700B0 0EC2E542
	buffer_load_dwordx4 a[112:115], v34, s[20:23], 0 offen offset:1024// 00000001DD84: E05C1400 80857022
	v_mfma_i32_16x16x32_i8 v[176:179], a[68:69], v[116:117], v[176:179]// 00000001DD8C: D3D700B0 0EC2E944
	v_mfma_i32_16x16x32_i8 v[176:179], a[70:71], v[118:119], v[176:179]// 00000001DD94: D3D700B0 0EC2ED46
	v_mfma_i32_16x16x32_i8 v[176:179], a[72:73], v[120:121], v[176:179]// 00000001DD9C: D3D700B0 0EC2F148
	v_mfma_i32_16x16x32_i8 v[176:179], a[74:75], v[122:123], v[176:179]// 00000001DDA4: D3D700B0 0EC2F54A
	buffer_load_dwordx4 a[116:119], v35, s[20:23], 0 offen offset:1024// 00000001DDAC: E05C1400 80857423
	v_mfma_i32_16x16x32_i8 v[176:179], a[76:77], v[124:125], v[176:179]// 00000001DDB4: D3D700B0 0EC2F94C
	v_mfma_i32_16x16x32_i8 v[176:179], a[78:79], v[126:127], v[176:179]// 00000001DDBC: D3D700B0 0EC2FD4E
	v_mfma_i32_16x16x32_i8 v[180:183], a[80:81], v[112:113], 0 // 00000001DDC4: D3D700B4 0A02E150
	v_mfma_i32_16x16x32_i8 v[180:183], a[82:83], v[114:115], v[180:183]// 00000001DDCC: D3D700B4 0ED2E552
	buffer_load_dwordx4 a[120:123], v36, s[20:23], 0 offen offset:1024// 00000001DDD4: E05C1400 80857824
	v_mfma_i32_16x16x32_i8 v[180:183], a[84:85], v[116:117], v[180:183]// 00000001DDDC: D3D700B4 0ED2E954
	v_mfma_i32_16x16x32_i8 v[180:183], a[86:87], v[118:119], v[180:183]// 00000001DDE4: D3D700B4 0ED2ED56
	v_mfma_i32_16x16x32_i8 v[180:183], a[88:89], v[120:121], v[180:183]// 00000001DDEC: D3D700B4 0ED2F158
	v_mfma_i32_16x16x32_i8 v[180:183], a[90:91], v[122:123], v[180:183]// 00000001DDF4: D3D700B4 0ED2F55A
	buffer_load_dwordx4 a[124:127], v37, s[20:23], 0 offen offset:1024// 00000001DDFC: E05C1400 80857C25
	v_mfma_i32_16x16x32_i8 v[180:183], a[92:93], v[124:125], v[180:183]// 00000001DE04: D3D700B4 0ED2F95C
	s_lshr_b32 s57, s70, 4                                     // 00000001DE0C: 8F398446
	s_add_u32 s57, 48, s57                                     // 00000001DE10: 803939B0
	v_mfma_i32_16x16x32_i8 v[180:183], a[94:95], v[126:127], v[180:183]// 00000001DE14: D3D700B4 0ED2FD5E
	s_cmp_ge_u32 s57, s73                                      // 00000001DE1C: BF094939
	s_cselect_b32 s56, 0, s56                                  // 00000001DE20: 85383880
	v_mfma_i32_16x16x32_i8 v[184:187], a[64:65], v[128:129], 0 // 00000001DE24: D3D700B8 0A030140
	v_mfma_i32_16x16x32_i8 v[184:187], a[66:67], v[130:131], v[184:187]// 00000001DE2C: D3D700B8 0EE30542
	v_mfma_i32_16x16x32_i8 v[184:187], a[68:69], v[132:133], v[184:187]// 00000001DE34: D3D700B8 0EE30944
	v_mfma_i32_16x16x32_i8 v[184:187], a[70:71], v[134:135], v[184:187]// 00000001DE3C: D3D700B8 0EE30D46
	v_mfma_i32_16x16x32_i8 v[184:187], a[72:73], v[136:137], v[184:187]// 00000001DE44: D3D700B8 0EE31148
	v_mfma_i32_16x16x32_i8 v[184:187], a[74:75], v[138:139], v[184:187]// 00000001DE4C: D3D700B8 0EE3154A
	v_mfma_i32_16x16x32_i8 v[184:187], a[76:77], v[140:141], v[184:187]// 00000001DE54: D3D700B8 0EE3194C
	v_mfma_i32_16x16x32_i8 v[184:187], a[78:79], v[142:143], v[184:187]// 00000001DE5C: D3D700B8 0EE31D4E
	v_mfma_i32_16x16x32_i8 v[188:191], a[80:81], v[128:129], 0 // 00000001DE64: D3D700BC 0A030150
	v_mfma_i32_16x16x32_i8 v[188:191], a[82:83], v[130:131], v[188:191]// 00000001DE6C: D3D700BC 0EF30552
	v_mfma_i32_16x16x32_i8 v[188:191], a[84:85], v[132:133], v[188:191]// 00000001DE74: D3D700BC 0EF30954
	v_mfma_i32_16x16x32_i8 v[188:191], a[86:87], v[134:135], v[188:191]// 00000001DE7C: D3D700BC 0EF30D56
	v_mfma_i32_16x16x32_i8 v[188:191], a[88:89], v[136:137], v[188:191]// 00000001DE84: D3D700BC 0EF31158
	v_mfma_i32_16x16x32_i8 v[188:191], a[90:91], v[138:139], v[188:191]// 00000001DE8C: D3D700BC 0EF3155A
	v_mfma_i32_16x16x32_i8 v[188:191], a[92:93], v[140:141], v[188:191]// 00000001DE94: D3D700BC 0EF3195C
	v_mfma_i32_16x16x32_i8 v[188:191], a[94:95], v[142:143], v[188:191]// 00000001DE9C: D3D700BC 0EF31D5E
	v_mfma_i32_16x16x32_i8 v[192:195], a[64:65], v[144:145], 0 // 00000001DEA4: D3D700C0 0A032140
	v_mfma_i32_16x16x32_i8 v[192:195], a[66:67], v[146:147], v[192:195]// 00000001DEAC: D3D700C0 0F032542
	v_mfma_i32_16x16x32_i8 v[192:195], a[68:69], v[148:149], v[192:195]// 00000001DEB4: D3D700C0 0F032944
	v_mfma_i32_16x16x32_i8 v[192:195], a[70:71], v[150:151], v[192:195]// 00000001DEBC: D3D700C0 0F032D46
	v_mfma_i32_16x16x32_i8 v[192:195], a[72:73], v[152:153], v[192:195]// 00000001DEC4: D3D700C0 0F033148
	v_mfma_i32_16x16x32_i8 v[192:195], a[74:75], v[154:155], v[192:195]// 00000001DECC: D3D700C0 0F03354A
	v_mfma_i32_16x16x32_i8 v[192:195], a[76:77], v[156:157], v[192:195]// 00000001DED4: D3D700C0 0F03394C
	v_mfma_i32_16x16x32_i8 v[192:195], a[78:79], v[158:159], v[192:195]// 00000001DEDC: D3D700C0 0F033D4E
	v_mfma_i32_16x16x32_i8 v[196:199], a[80:81], v[144:145], 0 // 00000001DEE4: D3D700C4 0A032150
	v_mfma_i32_16x16x32_i8 v[196:199], a[82:83], v[146:147], v[196:199]// 00000001DEEC: D3D700C4 0F132552
	v_mfma_i32_16x16x32_i8 v[196:199], a[84:85], v[148:149], v[196:199]// 00000001DEF4: D3D700C4 0F132954
	v_mfma_i32_16x16x32_i8 v[196:199], a[86:87], v[150:151], v[196:199]// 00000001DEFC: D3D700C4 0F132D56
	v_mfma_i32_16x16x32_i8 v[196:199], a[88:89], v[152:153], v[196:199]// 00000001DF04: D3D700C4 0F133158
	v_mfma_i32_16x16x32_i8 v[196:199], a[90:91], v[154:155], v[196:199]// 00000001DF0C: D3D700C4 0F13355A
	v_mfma_i32_16x16x32_i8 v[196:199], a[92:93], v[156:157], v[196:199]// 00000001DF14: D3D700C4 0F13395C
	v_mfma_i32_16x16x32_i8 v[196:199], a[94:95], v[158:159], v[196:199]// 00000001DF1C: D3D700C4 0F133D5E
	v_mfma_i32_16x16x32_i8 v[200:203], a[64:65], v[160:161], 0 // 00000001DF24: D3D700C8 0A034140
	v_mfma_i32_16x16x32_i8 v[200:203], a[66:67], v[162:163], v[200:203]// 00000001DF2C: D3D700C8 0F234542
	v_mfma_i32_16x16x32_i8 v[200:203], a[68:69], v[164:165], v[200:203]// 00000001DF34: D3D700C8 0F234944
	v_mfma_i32_16x16x32_i8 v[200:203], a[70:71], v[166:167], v[200:203]// 00000001DF3C: D3D700C8 0F234D46
	v_mfma_i32_16x16x32_i8 v[200:203], a[72:73], v[168:169], v[200:203]// 00000001DF44: D3D700C8 0F235148
	v_mfma_i32_16x16x32_i8 v[200:203], a[74:75], v[170:171], v[200:203]// 00000001DF4C: D3D700C8 0F23554A
	v_mfma_i32_16x16x32_i8 v[200:203], a[76:77], v[172:173], v[200:203]// 00000001DF54: D3D700C8 0F23594C
	v_mfma_i32_16x16x32_i8 v[200:203], a[78:79], v[174:175], v[200:203]// 00000001DF5C: D3D700C8 0F235D4E
	v_mfma_i32_16x16x32_i8 v[204:207], a[80:81], v[160:161], 0 // 00000001DF64: D3D700CC 0A034150
	v_mfma_i32_16x16x32_i8 v[204:207], a[82:83], v[162:163], v[204:207]// 00000001DF6C: D3D700CC 0F334552
	v_mfma_i32_16x16x32_i8 v[204:207], a[84:85], v[164:165], v[204:207]// 00000001DF74: D3D700CC 0F334954
	v_mfma_i32_16x16x32_i8 v[204:207], a[86:87], v[166:167], v[204:207]// 00000001DF7C: D3D700CC 0F334D56
	v_mfma_i32_16x16x32_i8 v[204:207], a[88:89], v[168:169], v[204:207]// 00000001DF84: D3D700CC 0F335158
	v_mfma_i32_16x16x32_i8 v[204:207], a[90:91], v[170:171], v[204:207]// 00000001DF8C: D3D700CC 0F33555A
	v_mfma_i32_16x16x32_i8 v[204:207], a[92:93], v[172:173], v[204:207]// 00000001DF94: D3D700CC 0F33595C
	v_mfma_i32_16x16x32_i8 v[204:207], a[94:95], v[174:175], v[204:207]// 00000001DF9C: D3D700CC 0F335D5E
	v_add_u32_e32 v1, s56, v1                                  // 00000001DFA4: 68020238
	s_addk_i32 s70, 0x100                                      // 00000001DFA8: B7460100
	s_cmp_lt_i32 s70, s71                                      // 00000001DFAC: BF044746
	s_cbranch_scc0 label_785C                                  // 00000001DFB0: BF8408EF
	s_waitcnt vmcnt(8) lgkmcnt(0)                              // 00000001DFB4: BF8C0078
	v_mul_u32_u24_dpp v64, v16, v54 row_newbcast:0 row_mask:0xf bank_mask:0xf// 00000001DFB8: 10806CFA FF015010
	v_mul_u32_u24_dpp v65, v16, v54 row_newbcast:4 row_mask:0xf bank_mask:0xf// 00000001DFC0: 10826CFA FF015410
	v_mul_u32_u24_dpp v66, v16, v54 row_newbcast:8 row_mask:0xf bank_mask:0xf// 00000001DFC8: 10846CFA FF015810
	v_mul_u32_u24_dpp v67, v16, v54 row_newbcast:12 row_mask:0xf bank_mask:0xf// 00000001DFD0: 10866CFA FF015C10
	v_add_u32_e32 v22, v64, v5                                 // 00000001DFD8: 682C0B40
	v_add_u32_e32 v23, v65, v5                                 // 00000001DFDC: 682E0B41
	v_add_u32_e32 v24, v66, v5                                 // 00000001DFE0: 68300B42
	v_add_u32_e32 v25, v67, v5                                 // 00000001DFE4: 68320B43
	v_mul_u32_u24_dpp v64, v16, v63 quad_perm:[0,0,0,0] row_mask:0xf bank_mask:0xf// 00000001DFE8: 10807EFA FF000010
	v_add_u32_e32 v2, v64, v59                                 // 00000001DFF0: 68047740
	v_mul_u32_u24_dpp v64, v16, v63 quad_perm:[0,0,0,0] row_mask:0xf bank_mask:0xf// 00000001DFF4: 10807EFA FF000010
	v_add_u32_e32 v55, v64, v60                                // 00000001DFFC: 686E7940
	v_mfma_i32_16x16x32_i8 v[112:115], a[32:33], v[80:81], 0   // 00000001E000: D3D70070 0A02A120
	v_mfma_i32_16x16x32_i8 v[112:115], a[34:35], v[82:83], v[112:115]// 00000001E008: D3D70070 0DC2A522
	buffer_load_dwordx4 a[0:3], v22, s[16:19], 0 offen         // 00000001E010: E05C1000 80840016
	v_mfma_i32_16x16x32_i8 v[112:115], a[36:37], v[84:85], v[112:115]// 00000001E018: D3D70070 0DC2A924
	v_mfma_i32_16x16x32_i8 v[112:115], a[38:39], v[86:87], v[112:115]// 00000001E020: D3D70070 0DC2AD26
	buffer_load_dword v17, v1, s[24:27], 0 offen               // 00000001E028: E0501000 80061101
	v_mfma_i32_16x16x32_i8 v[116:119], a[40:41], v[80:81], 0   // 00000001E030: D3D70074 0A02A128
	v_mfma_i32_16x16x32_i8 v[116:119], a[42:43], v[82:83], v[116:119]// 00000001E038: D3D70074 0DD2A52A
	buffer_load_dwordx4 a[4:7], v22, s[16:19], 0 offen offset:1024// 00000001E040: E05C1400 80840416
	v_mfma_i32_16x16x32_i8 v[116:119], a[44:45], v[84:85], v[116:119]// 00000001E048: D3D70074 0DD2A92C
	v_mfma_i32_16x16x32_i8 v[116:119], a[46:47], v[86:87], v[116:119]// 00000001E050: D3D70074 0DD2AD2E
	v_mfma_i32_16x16x32_i8 v[120:123], a[48:49], v[80:81], 0   // 00000001E058: D3D70078 0A02A130
	v_mfma_i32_16x16x32_i8 v[120:123], a[50:51], v[82:83], v[120:123]// 00000001E060: D3D70078 0DE2A532
	buffer_load_dwordx4 a[8:11], v23, s[16:19], 0 offen        // 00000001E068: E05C1000 80840817
	v_mfma_i32_16x16x32_i8 v[120:123], a[52:53], v[84:85], v[120:123]// 00000001E070: D3D70078 0DE2A934
	v_mfma_i32_16x16x32_i8 v[120:123], a[54:55], v[86:87], v[120:123]// 00000001E078: D3D70078 0DE2AD36
	v_mfma_i32_16x16x32_i8 v[124:127], a[56:57], v[80:81], 0   // 00000001E080: D3D7007C 0A02A138
	v_mfma_i32_16x16x32_i8 v[124:127], a[58:59], v[82:83], v[124:127]// 00000001E088: D3D7007C 0DF2A53A
	buffer_load_dwordx4 a[12:15], v23, s[16:19], 0 offen offset:1024// 00000001E090: E05C1400 80840C17
	v_mfma_i32_16x16x32_i8 v[124:127], a[60:61], v[84:85], v[124:127]// 00000001E098: D3D7007C 0DF2A93C
	v_mfma_i32_16x16x32_i8 v[124:127], a[62:63], v[86:87], v[124:127]// 00000001E0A0: D3D7007C 0DF2AD3E
	v_mfma_i32_16x16x32_i8 v[128:131], a[32:33], v[88:89], 0   // 00000001E0A8: D3D70080 0A02B120
	v_mfma_i32_16x16x32_i8 v[128:131], a[34:35], v[90:91], v[128:131]// 00000001E0B0: D3D70080 0E02B522
	v_mfma_i32_16x16x32_i8 v[128:131], a[36:37], v[92:93], v[128:131]// 00000001E0B8: D3D70080 0E02B924
	v_mfma_i32_16x16x32_i8 v[128:131], a[38:39], v[94:95], v[128:131]// 00000001E0C0: D3D70080 0E02BD26
	v_mfma_i32_16x16x32_i8 v[132:135], a[40:41], v[88:89], 0   // 00000001E0C8: D3D70084 0A02B128
	v_mfma_i32_16x16x32_i8 v[132:135], a[42:43], v[90:91], v[132:135]// 00000001E0D0: D3D70084 0E12B52A
	v_mfma_i32_16x16x32_i8 v[132:135], a[44:45], v[92:93], v[132:135]// 00000001E0D8: D3D70084 0E12B92C
	v_mfma_i32_16x16x32_i8 v[132:135], a[46:47], v[94:95], v[132:135]// 00000001E0E0: D3D70084 0E12BD2E
	v_mfma_i32_16x16x32_i8 v[136:139], a[48:49], v[88:89], 0   // 00000001E0E8: D3D70088 0A02B130
	v_mfma_i32_16x16x32_i8 v[136:139], a[50:51], v[90:91], v[136:139]// 00000001E0F0: D3D70088 0E22B532
	v_mfma_i32_16x16x32_i8 v[136:139], a[52:53], v[92:93], v[136:139]// 00000001E0F8: D3D70088 0E22B934
	v_mfma_i32_16x16x32_i8 v[136:139], a[54:55], v[94:95], v[136:139]// 00000001E100: D3D70088 0E22BD36
	v_mfma_i32_16x16x32_i8 v[140:143], a[56:57], v[88:89], 0   // 00000001E108: D3D7008C 0A02B138
	v_mfma_i32_16x16x32_i8 v[140:143], a[58:59], v[90:91], v[140:143]// 00000001E110: D3D7008C 0E32B53A
	v_mfma_i32_16x16x32_i8 v[140:143], a[60:61], v[92:93], v[140:143]// 00000001E118: D3D7008C 0E32B93C
	v_mfma_i32_16x16x32_i8 v[140:143], a[62:63], v[94:95], v[140:143]// 00000001E120: D3D7008C 0E32BD3E
	v_mfma_i32_16x16x32_i8 v[144:147], a[32:33], v[96:97], 0   // 00000001E128: D3D70090 0A02C120
	v_mfma_i32_16x16x32_i8 v[144:147], a[34:35], v[98:99], v[144:147]// 00000001E130: D3D70090 0E42C522
	v_mfma_i32_16x16x32_i8 v[144:147], a[36:37], v[100:101], v[144:147]// 00000001E138: D3D70090 0E42C924
	v_mfma_i32_16x16x32_i8 v[144:147], a[38:39], v[102:103], v[144:147]// 00000001E140: D3D70090 0E42CD26
	v_mfma_i32_16x16x32_i8 v[148:151], a[40:41], v[96:97], 0   // 00000001E148: D3D70094 0A02C128
	v_mfma_i32_16x16x32_i8 v[148:151], a[42:43], v[98:99], v[148:151]// 00000001E150: D3D70094 0E52C52A
	v_mfma_i32_16x16x32_i8 v[148:151], a[44:45], v[100:101], v[148:151]// 00000001E158: D3D70094 0E52C92C
	v_mfma_i32_16x16x32_i8 v[148:151], a[46:47], v[102:103], v[148:151]// 00000001E160: D3D70094 0E52CD2E
	v_mfma_i32_16x16x32_i8 v[152:155], a[48:49], v[96:97], 0   // 00000001E168: D3D70098 0A02C130
	v_mfma_i32_16x16x32_i8 v[152:155], a[50:51], v[98:99], v[152:155]// 00000001E170: D3D70098 0E62C532
	v_mfma_i32_16x16x32_i8 v[152:155], a[52:53], v[100:101], v[152:155]// 00000001E178: D3D70098 0E62C934
	v_mfma_i32_16x16x32_i8 v[152:155], a[54:55], v[102:103], v[152:155]// 00000001E180: D3D70098 0E62CD36
	v_mfma_i32_16x16x32_i8 v[156:159], a[56:57], v[96:97], 0   // 00000001E188: D3D7009C 0A02C138
	v_mfma_i32_16x16x32_i8 v[156:159], a[58:59], v[98:99], v[156:159]// 00000001E190: D3D7009C 0E72C53A
	v_mfma_i32_16x16x32_i8 v[156:159], a[60:61], v[100:101], v[156:159]// 00000001E198: D3D7009C 0E72C93C
	v_mfma_i32_16x16x32_i8 v[156:159], a[62:63], v[102:103], v[156:159]// 00000001E1A0: D3D7009C 0E72CD3E
	v_mfma_i32_16x16x32_i8 v[160:163], a[32:33], v[104:105], 0 // 00000001E1A8: D3D700A0 0A02D120
	v_mfma_i32_16x16x32_i8 v[160:163], a[34:35], v[106:107], v[160:163]// 00000001E1B0: D3D700A0 0E82D522
	v_mfma_i32_16x16x32_i8 v[160:163], a[36:37], v[108:109], v[160:163]// 00000001E1B8: D3D700A0 0E82D924
	v_mfma_i32_16x16x32_i8 v[160:163], a[38:39], v[110:111], v[160:163]// 00000001E1C0: D3D700A0 0E82DD26
	v_mfma_i32_16x16x32_i8 v[164:167], a[40:41], v[104:105], 0 // 00000001E1C8: D3D700A4 0A02D128
	v_mfma_i32_16x16x32_i8 v[164:167], a[42:43], v[106:107], v[164:167]// 00000001E1D0: D3D700A4 0E92D52A
	v_mfma_i32_16x16x32_i8 v[164:167], a[44:45], v[108:109], v[164:167]// 00000001E1D8: D3D700A4 0E92D92C
	v_mfma_i32_16x16x32_i8 v[164:167], a[46:47], v[110:111], v[164:167]// 00000001E1E0: D3D700A4 0E92DD2E
	v_mfma_i32_16x16x32_i8 v[168:171], a[48:49], v[104:105], 0 // 00000001E1E8: D3D700A8 0A02D130
	v_mfma_i32_16x16x32_i8 v[168:171], a[50:51], v[106:107], v[168:171]// 00000001E1F0: D3D700A8 0EA2D532
	v_mfma_i32_16x16x32_i8 v[168:171], a[52:53], v[108:109], v[168:171]// 00000001E1F8: D3D700A8 0EA2D934
	v_mfma_i32_16x16x32_i8 v[168:171], a[54:55], v[110:111], v[168:171]// 00000001E200: D3D700A8 0EA2DD36
	v_mfma_i32_16x16x32_i8 v[172:175], a[56:57], v[104:105], 0 // 00000001E208: D3D700AC 0A02D138
	v_mfma_i32_16x16x32_i8 v[172:175], a[58:59], v[106:107], v[172:175]// 00000001E210: D3D700AC 0EB2D53A
	v_mfma_i32_16x16x32_i8 v[172:175], a[60:61], v[108:109], v[172:175]// 00000001E218: D3D700AC 0EB2D93C
	v_mfma_i32_16x16x32_i8 v[172:175], a[62:63], v[110:111], v[172:175]// 00000001E220: D3D700AC 0EB2DD3E
	buffer_load_dword v42, v2, s[32:35], 0 offen               // 00000001E228: E0501000 80082A02
	v_mov_b32_dpp v64, v43 row_shr:4 row_mask:0xf bank_mask:0xf// 00000001E230: 7E8002FA FF01142B
	v_mov_b32_dpp v65, v43 row_shl:4 row_mask:0xf bank_mask:0xf// 00000001E238: 7E8202FA FF01042B
	v_cndmask_b32_e64 v248, v43, v64, s[44:45]                 // 00000001E240: D10000F8 00B2812B
	v_cndmask_b32_e64 v249, v65, v43, s[44:45]                 // 00000001E248: D10000F9 00B25741
	v_mov_b32_dpp v64, v248 row_shr:8 row_mask:0xf bank_mask:0xf// 00000001E250: 7E8002FA FF0118F8
	v_mov_b32_dpp v65, v248 row_shl:8 row_mask:0xf bank_mask:0xf// 00000001E258: 7E8202FA FF0108F8
	v_mov_b32_dpp v66, v249 row_shr:8 row_mask:0xf bank_mask:0xf// 00000001E260: 7E8402FA FF0118F9
	v_mov_b32_dpp v67, v249 row_shl:8 row_mask:0xf bank_mask:0xf// 00000001E268: 7E8602FA FF0108F9
	v_mov_b32_e32 v68, v248                                    // 00000001E270: 7E8803F8
	v_mov_b32_e32 v69, v249                                    // 00000001E274: 7E8A03F9
	v_cndmask_b32_e64 v248, v68, v64, s[42:43]                 // 00000001E278: D10000F8 00AA8144
	v_cndmask_b32_e64 v250, v68, v65, s[78:79]                 // 00000001E280: D10000FA 013A8344
	v_cndmask_b32_e64 v249, v69, v66, s[42:43]                 // 00000001E288: D10000F9 00AA8545
	v_cndmask_b32_e64 v251, v69, v67, s[78:79]                 // 00000001E290: D10000FB 013A8745
	v_mov_b32_dpp v64, v58 row_shr:4 row_mask:0xf bank_mask:0xf// 00000001E298: 7E8002FA FF01143A
	v_mov_b32_dpp v65, v58 row_shl:4 row_mask:0xf bank_mask:0xf// 00000001E2A0: 7E8202FA FF01043A
	v_cndmask_b32_e64 v252, v58, v64, s[44:45]                 // 00000001E2A8: D10000FC 00B2813A
	v_cndmask_b32_e64 v253, v65, v58, s[44:45]                 // 00000001E2B0: D10000FD 00B27541
	v_mov_b32_dpp v64, v252 row_shr:8 row_mask:0xf bank_mask:0xf// 00000001E2B8: 7E8002FA FF0118FC
	v_mov_b32_dpp v65, v252 row_shl:8 row_mask:0xf bank_mask:0xf// 00000001E2C0: 7E8202FA FF0108FC
	v_mov_b32_dpp v66, v253 row_shr:8 row_mask:0xf bank_mask:0xf// 00000001E2C8: 7E8402FA FF0118FD
	v_mov_b32_dpp v67, v253 row_shl:8 row_mask:0xf bank_mask:0xf// 00000001E2D0: 7E8602FA FF0108FD
	v_mov_b32_e32 v68, v252                                    // 00000001E2D8: 7E8803FC
	v_mov_b32_e32 v69, v253                                    // 00000001E2DC: 7E8A03FD
	v_cndmask_b32_e64 v252, v68, v64, s[42:43]                 // 00000001E2E0: D10000FC 00AA8144
	v_cndmask_b32_e64 v254, v68, v65, s[78:79]                 // 00000001E2E8: D10000FE 013A8344
	v_cndmask_b32_e64 v253, v69, v66, s[42:43]                 // 00000001E2F0: D10000FD 00AA8545
	v_cndmask_b32_e64 v255, v69, v67, s[78:79]                 // 00000001E2F8: D10000FF 013A8745
	buffer_load_dword v57, v55, s[36:39], 0 offen              // 00000001E300: E0501000 80093937
	v_cvt_f32_i32_e32 v112, v112                               // 00000001E308: 7EE00B70
	v_cvt_f32_i32_e32 v113, v113                               // 00000001E30C: 7EE20B71
	v_cvt_f32_i32_e32 v114, v114                               // 00000001E310: 7EE40B72
	v_cvt_f32_i32_e32 v115, v115                               // 00000001E314: 7EE60B73
	v_cvt_f32_i32_e32 v116, v116                               // 00000001E318: 7EE80B74
	v_cvt_f32_i32_e32 v117, v117                               // 00000001E31C: 7EEA0B75
	v_cvt_f32_i32_e32 v118, v118                               // 00000001E320: 7EEC0B76
	v_cvt_f32_i32_e32 v119, v119                               // 00000001E324: 7EEE0B77
	v_cvt_f32_i32_e32 v120, v120                               // 00000001E328: 7EF00B78
	v_cvt_f32_i32_e32 v121, v121                               // 00000001E32C: 7EF20B79
	v_cvt_f32_i32_e32 v122, v122                               // 00000001E330: 7EF40B7A
	v_cvt_f32_i32_e32 v123, v123                               // 00000001E334: 7EF60B7B
	v_cvt_f32_i32_e32 v124, v124                               // 00000001E338: 7EF80B7C
	v_cvt_f32_i32_e32 v125, v125                               // 00000001E33C: 7EFA0B7D
	v_cvt_f32_i32_e32 v126, v126                               // 00000001E340: 7EFC0B7E
	v_cvt_f32_i32_e32 v127, v127                               // 00000001E344: 7EFE0B7F
	v_mul_f32_e32 v112, v18, v112                              // 00000001E348: 0AE0E112
	v_mul_f32_e32 v113, v18, v113                              // 00000001E34C: 0AE2E312
	v_mul_f32_e32 v114, v18, v114                              // 00000001E350: 0AE4E512
	v_mul_f32_e32 v115, v18, v115                              // 00000001E354: 0AE6E712
	v_mul_f32_e32 v116, v18, v116                              // 00000001E358: 0AE8E912
	v_mul_f32_e32 v117, v18, v117                              // 00000001E35C: 0AEAEB12
	v_mul_f32_e32 v118, v18, v118                              // 00000001E360: 0AECED12
	v_mul_f32_e32 v119, v18, v119                              // 00000001E364: 0AEEEF12
	v_mul_f32_e32 v120, v18, v120                              // 00000001E368: 0AF0F112
	v_mul_f32_e32 v121, v18, v121                              // 00000001E36C: 0AF2F312
	v_mul_f32_e32 v122, v18, v122                              // 00000001E370: 0AF4F512
	v_mul_f32_e32 v123, v18, v123                              // 00000001E374: 0AF6F712
	v_mul_f32_e32 v124, v18, v124                              // 00000001E378: 0AF8F912
	v_mul_f32_e32 v125, v18, v125                              // 00000001E37C: 0AFAFB12
	v_mul_f32_e32 v126, v18, v126                              // 00000001E380: 0AFCFD12
	v_mul_f32_e32 v127, v18, v127                              // 00000001E384: 0AFEFF12
	buffer_load_dwordx4 a[16:19], v24, s[16:19], 0 offen       // 00000001E388: E05C1000 80841018
	v_mul_f32_dpp v112, v248, v112 quad_perm:[0,0,0,0] row_mask:0xf bank_mask:0xf// 00000001E390: 0AE0E0FA FF0000F8
	v_mul_f32_dpp v113, v248, v113 quad_perm:[1,1,1,1] row_mask:0xf bank_mask:0xf// 00000001E398: 0AE2E2FA FF0055F8
	v_mul_f32_dpp v114, v248, v114 quad_perm:[2,2,2,2] row_mask:0xf bank_mask:0xf// 00000001E3A0: 0AE4E4FA FF00AAF8
	v_mul_f32_dpp v115, v248, v115 quad_perm:[3,3,3,3] row_mask:0xf bank_mask:0xf// 00000001E3A8: 0AE6E6FA FF00FFF8
	v_mul_f32_dpp v116, v249, v116 quad_perm:[0,0,0,0] row_mask:0xf bank_mask:0xf// 00000001E3B0: 0AE8E8FA FF0000F9
	v_mul_f32_dpp v117, v249, v117 quad_perm:[1,1,1,1] row_mask:0xf bank_mask:0xf// 00000001E3B8: 0AEAEAFA FF0055F9
	v_mul_f32_dpp v118, v249, v118 quad_perm:[2,2,2,2] row_mask:0xf bank_mask:0xf// 00000001E3C0: 0AECECFA FF00AAF9
	v_mul_f32_dpp v119, v249, v119 quad_perm:[3,3,3,3] row_mask:0xf bank_mask:0xf// 00000001E3C8: 0AEEEEFA FF00FFF9
	v_mul_f32_dpp v120, v250, v120 quad_perm:[0,0,0,0] row_mask:0xf bank_mask:0xf// 00000001E3D0: 0AF0F0FA FF0000FA
	v_mul_f32_dpp v121, v250, v121 quad_perm:[1,1,1,1] row_mask:0xf bank_mask:0xf// 00000001E3D8: 0AF2F2FA FF0055FA
	v_mul_f32_dpp v122, v250, v122 quad_perm:[2,2,2,2] row_mask:0xf bank_mask:0xf// 00000001E3E0: 0AF4F4FA FF00AAFA
	v_mul_f32_dpp v123, v250, v123 quad_perm:[3,3,3,3] row_mask:0xf bank_mask:0xf// 00000001E3E8: 0AF6F6FA FF00FFFA
	v_mul_f32_dpp v124, v251, v124 quad_perm:[0,0,0,0] row_mask:0xf bank_mask:0xf// 00000001E3F0: 0AF8F8FA FF0000FB
	v_mul_f32_dpp v125, v251, v125 quad_perm:[1,1,1,1] row_mask:0xf bank_mask:0xf// 00000001E3F8: 0AFAFAFA FF0055FB
	v_mul_f32_dpp v126, v251, v126 quad_perm:[2,2,2,2] row_mask:0xf bank_mask:0xf// 00000001E400: 0AFCFCFA FF00AAFB
	v_mul_f32_dpp v127, v251, v127 quad_perm:[3,3,3,3] row_mask:0xf bank_mask:0xf// 00000001E408: 0AFEFEFA FF00FFFB
	buffer_load_dwordx4 a[20:23], v24, s[16:19], 0 offen offset:1024// 00000001E410: E05C1400 80841418
	v_mov_b32_e32 v48, v112                                    // 00000001E418: 7E600370
	v_max3_f32 v48, v112, v113, v48                            // 00000001E41C: D1D30030 04C2E370
	v_max3_f32 v48, v114, v115, v48                            // 00000001E424: D1D30030 04C2E772
	v_max3_f32 v48, v116, v117, v48                            // 00000001E42C: D1D30030 04C2EB74
	v_max3_f32 v48, v118, v119, v48                            // 00000001E434: D1D30030 04C2EF76
	v_max3_f32 v48, v120, v121, v48                            // 00000001E43C: D1D30030 04C2F378
	v_max3_f32 v48, v122, v123, v48                            // 00000001E444: D1D30030 04C2F77A
	v_max3_f32 v48, v124, v125, v48                            // 00000001E44C: D1D30030 04C2FB7C
	v_max3_f32 v48, v126, v127, v48                            // 00000001E454: D1D30030 04C2FF7E
	ds_write_b32 v8, v48 offset:16896                          // 00000001E45C: D81A4200 00003008
	buffer_load_dwordx4 a[24:27], v25, s[16:19], 0 offen       // 00000001E464: E05C1000 80841819
	v_mul_u32_u24_dpp v64, v16, v54 row_newbcast:1 row_mask:0xf bank_mask:0xf// 00000001E46C: 10806CFA FF015110
	v_mul_u32_u24_dpp v65, v16, v54 row_newbcast:5 row_mask:0xf bank_mask:0xf// 00000001E474: 10826CFA FF015510
	v_mul_u32_u24_dpp v66, v16, v54 row_newbcast:9 row_mask:0xf bank_mask:0xf// 00000001E47C: 10846CFA FF015910
	v_mul_u32_u24_dpp v67, v16, v54 row_newbcast:13 row_mask:0xf bank_mask:0xf// 00000001E484: 10866CFA FF015D10
	v_add_u32_e32 v30, v64, v6                                 // 00000001E48C: 683C0D40
	v_add_u32_e32 v31, v65, v6                                 // 00000001E490: 683E0D41
	v_add_u32_e32 v32, v66, v6                                 // 00000001E494: 68400D42
	v_add_u32_e32 v33, v67, v6                                 // 00000001E498: 68420D43
	v_mul_f32_e32 v208, v49, v208                              // 00000001E49C: 0BA1A131
	v_mul_f32_e32 v209, v49, v209                              // 00000001E4A0: 0BA3A331
	v_mul_f32_e32 v210, v49, v210                              // 00000001E4A4: 0BA5A531
	v_mul_f32_e32 v211, v49, v211                              // 00000001E4A8: 0BA7A731
	v_mul_f32_e32 v212, v49, v212                              // 00000001E4AC: 0BA9A931
	v_mul_f32_e32 v213, v49, v213                              // 00000001E4B0: 0BABAB31
	v_mul_f32_e32 v214, v49, v214                              // 00000001E4B4: 0BADAD31
	v_mul_f32_e32 v215, v49, v215                              // 00000001E4B8: 0BAFAF31
	s_waitcnt lgkmcnt(0)                                       // 00000001E4BC: BF8CC07F
	s_barrier                                                  // 00000001E4C0: BF8A0000
	ds_read_b32 v64, v7 offset:16896                           // 00000001E4C4: D86C4200 40000007
	ds_read_b32 v65, v7 offset:16960                           // 00000001E4CC: D86C4240 41000007
	ds_read_b32 v66, v7 offset:17024                           // 00000001E4D4: D86C4280 42000007
	ds_read_b32 v67, v7 offset:17088                           // 00000001E4DC: D86C42C0 43000007
	ds_read_b32 v68, v7 offset:17152                           // 00000001E4E4: D86C4300 44000007
	ds_read_b32 v69, v7 offset:17216                           // 00000001E4EC: D86C4340 45000007
	ds_read_b32 v70, v7 offset:17280                           // 00000001E4F4: D86C4380 46000007
	ds_read_b32 v71, v7 offset:17344                           // 00000001E4FC: D86C43C0 47000007
	ds_read_b32 v72, v7 offset:17408                           // 00000001E504: D86C4400 48000007
	ds_read_b32 v73, v7 offset:17472                           // 00000001E50C: D86C4440 49000007
	ds_read_b32 v74, v7 offset:17536                           // 00000001E514: D86C4480 4A000007
	ds_read_b32 v75, v7 offset:17600                           // 00000001E51C: D86C44C0 4B000007
	ds_read_b32 v76, v7 offset:17664                           // 00000001E524: D86C4500 4C000007
	ds_read_b32 v77, v7 offset:17728                           // 00000001E52C: D86C4540 4D000007
	ds_read_b32 v78, v7 offset:17792                           // 00000001E534: D86C4580 4E000007
	ds_read_b32 v79, v7 offset:17856                           // 00000001E53C: D86C45C0 4F000007
	buffer_load_dwordx4 a[28:31], v25, s[16:19], 0 offen offset:1024// 00000001E544: E05C1400 80841C19
	v_cvt_f32_i32_e32 v176, v176                               // 00000001E54C: 7F600BB0
	v_cvt_f32_i32_e32 v177, v177                               // 00000001E550: 7F620BB1
	v_cvt_f32_i32_e32 v178, v178                               // 00000001E554: 7F640BB2
	v_cvt_f32_i32_e32 v179, v179                               // 00000001E558: 7F660BB3
	v_cvt_f32_i32_e32 v180, v180                               // 00000001E55C: 7F680BB4
	v_cvt_f32_i32_e32 v181, v181                               // 00000001E560: 7F6A0BB5
	v_cvt_f32_i32_e32 v182, v182                               // 00000001E564: 7F6C0BB6
	v_cvt_f32_i32_e32 v183, v183                               // 00000001E568: 7F6E0BB7
	v_mul_f32_e32 v176, v44, v176                              // 00000001E56C: 0B61612C
	v_mul_f32_e32 v177, v44, v177                              // 00000001E570: 0B63632C
	v_mul_f32_e32 v178, v44, v178                              // 00000001E574: 0B65652C
	v_mul_f32_e32 v179, v44, v179                              // 00000001E578: 0B67672C
	v_mul_f32_e32 v180, v44, v180                              // 00000001E57C: 0B69692C
	v_mul_f32_e32 v181, v44, v181                              // 00000001E580: 0B6B6B2C
	v_mul_f32_e32 v182, v44, v182                              // 00000001E584: 0B6D6D2C
	v_mul_f32_e32 v183, v44, v183                              // 00000001E588: 0B6F6F2C
	s_waitcnt lgkmcnt(0)                                       // 00000001E58C: BF8CC07F
	v_max3_f32 v48, v64, v65, v48                              // 00000001E590: D1D30030 04C28340
	v_max3_f32 v48, v66, v67, v48                              // 00000001E598: D1D30030 04C28742
	v_max3_f32 v48, v68, v69, v48                              // 00000001E5A0: D1D30030 04C28B44
	v_max3_f32 v48, v70, v71, v48                              // 00000001E5A8: D1D30030 04C28F46
	v_max3_f32 v48, v72, v73, v48                              // 00000001E5B0: D1D30030 04C29348
	v_max3_f32 v48, v74, v75, v48                              // 00000001E5B8: D1D30030 04C2974A
	v_max3_f32 v48, v76, v77, v48                              // 00000001E5C0: D1D30030 04C29B4C
	v_max3_f32 v48, v78, v79, v48                              // 00000001E5C8: D1D30030 04C29F4E
	buffer_load_dwordx4 a[64:67], v30, s[20:23], 0 offen       // 00000001E5D0: E05C1000 8085401E
	v_mov_b32_e32 v64, 0xff800000                              // 00000001E5D8: 7E8002FF FF800000
	v_cmp_eq_u32_e64 s[40:41], v64, v11                        // 00000001E5E0: D0CA0028 00021740
	s_nop 1                                                    // 00000001E5E8: BF800001
	v_max_f32_e32 v15, v48, v11                                // 00000001E5EC: 161E1730
	v_mul_f32_e32 v53, s64, v15                                // 00000001E5F0: 0A6A1E40
	v_fma_f32 v112, v112, s64, -v53                            // 00000001E5F4: D1CB0070 84D48170
	v_fma_f32 v113, v113, s64, -v53                            // 00000001E5FC: D1CB0071 84D48171
	v_fma_f32 v114, v114, s64, -v53                            // 00000001E604: D1CB0072 84D48172
	v_fma_f32 v115, v115, s64, -v53                            // 00000001E60C: D1CB0073 84D48173
	v_fma_f32 v116, v116, s64, -v53                            // 00000001E614: D1CB0074 84D48174
	v_fma_f32 v117, v117, s64, -v53                            // 00000001E61C: D1CB0075 84D48175
	v_fma_f32 v118, v118, s64, -v53                            // 00000001E624: D1CB0076 84D48176
	v_fma_f32 v119, v119, s64, -v53                            // 00000001E62C: D1CB0077 84D48177
	v_fma_f32 v120, v120, s64, -v53                            // 00000001E634: D1CB0078 84D48178
	v_fma_f32 v121, v121, s64, -v53                            // 00000001E63C: D1CB0079 84D48179
	v_fma_f32 v122, v122, s64, -v53                            // 00000001E644: D1CB007A 84D4817A
	v_fma_f32 v123, v123, s64, -v53                            // 00000001E64C: D1CB007B 84D4817B
	v_fma_f32 v124, v124, s64, -v53                            // 00000001E654: D1CB007C 84D4817C
	v_fma_f32 v125, v125, s64, -v53                            // 00000001E65C: D1CB007D 84D4817D
	v_fma_f32 v126, v126, s64, -v53                            // 00000001E664: D1CB007E 84D4817E
	v_fma_f32 v127, v127, s64, -v53                            // 00000001E66C: D1CB007F 84D4817F
	buffer_load_dwordx4 a[68:71], v31, s[20:23], 0 offen       // 00000001E674: E05C1000 8085441F
	v_exp_f32_e32 v112, v112                                   // 00000001E67C: 7EE04170
	v_exp_f32_e32 v113, v113                                   // 00000001E680: 7EE24171
	v_exp_f32_e32 v114, v114                                   // 00000001E684: 7EE44172
	v_exp_f32_e32 v115, v115                                   // 00000001E688: 7EE64173
	v_exp_f32_e32 v116, v116                                   // 00000001E68C: 7EE84174
	v_exp_f32_e32 v117, v117                                   // 00000001E690: 7EEA4175
	v_exp_f32_e32 v118, v118                                   // 00000001E694: 7EEC4176
	v_exp_f32_e32 v119, v119                                   // 00000001E698: 7EEE4177
	v_exp_f32_e32 v120, v120                                   // 00000001E69C: 7EF04178
	v_exp_f32_e32 v121, v121                                   // 00000001E6A0: 7EF24179
	v_exp_f32_e32 v122, v122                                   // 00000001E6A4: 7EF4417A
	v_exp_f32_e32 v123, v123                                   // 00000001E6A8: 7EF6417B
	v_exp_f32_e32 v124, v124                                   // 00000001E6AC: 7EF8417C
	v_exp_f32_e32 v125, v125                                   // 00000001E6B0: 7EFA417D
	v_exp_f32_e32 v126, v126                                   // 00000001E6B4: 7EFC417E
	v_exp_f32_e32 v127, v127                                   // 00000001E6B8: 7EFE417F
	buffer_load_dwordx4 a[72:75], v32, s[20:23], 0 offen       // 00000001E6BC: E05C1000 80854820
	v_mul_f32_dpp v240, v252, v112 quad_perm:[0,0,0,0] row_mask:0xf bank_mask:0xf// 00000001E6C4: 0BE0E0FA FF0000FC
	v_mul_f32_dpp v241, v252, v113 quad_perm:[1,1,1,1] row_mask:0xf bank_mask:0xf// 00000001E6CC: 0BE2E2FA FF0055FC
	v_mul_f32_dpp v242, v252, v114 quad_perm:[2,2,2,2] row_mask:0xf bank_mask:0xf// 00000001E6D4: 0BE4E4FA FF00AAFC
	v_mul_f32_dpp v243, v252, v115 quad_perm:[3,3,3,3] row_mask:0xf bank_mask:0xf// 00000001E6DC: 0BE6E6FA FF00FFFC
	v_mul_f32_dpp v244, v253, v116 quad_perm:[0,0,0,0] row_mask:0xf bank_mask:0xf// 00000001E6E4: 0BE8E8FA FF0000FD
	v_mul_f32_dpp v245, v253, v117 quad_perm:[1,1,1,1] row_mask:0xf bank_mask:0xf// 00000001E6EC: 0BEAEAFA FF0055FD
	v_mul_f32_dpp v246, v253, v118 quad_perm:[2,2,2,2] row_mask:0xf bank_mask:0xf// 00000001E6F4: 0BECECFA FF00AAFD
	v_mul_f32_dpp v247, v253, v119 quad_perm:[3,3,3,3] row_mask:0xf bank_mask:0xf// 00000001E6FC: 0BEEEEFA FF00FFFD
	v_mul_f32_dpp v248, v254, v120 quad_perm:[0,0,0,0] row_mask:0xf bank_mask:0xf// 00000001E704: 0BF0F0FA FF0000FE
	v_mul_f32_dpp v249, v254, v121 quad_perm:[1,1,1,1] row_mask:0xf bank_mask:0xf// 00000001E70C: 0BF2F2FA FF0055FE
	v_mul_f32_dpp v250, v254, v122 quad_perm:[2,2,2,2] row_mask:0xf bank_mask:0xf// 00000001E714: 0BF4F4FA FF00AAFE
	v_mul_f32_dpp v251, v254, v123 quad_perm:[3,3,3,3] row_mask:0xf bank_mask:0xf// 00000001E71C: 0BF6F6FA FF00FFFE
	v_mul_f32_dpp v252, v255, v124 quad_perm:[0,0,0,0] row_mask:0xf bank_mask:0xf// 00000001E724: 0BF8F8FA FF0000FF
	v_mul_f32_dpp v253, v255, v125 quad_perm:[1,1,1,1] row_mask:0xf bank_mask:0xf// 00000001E72C: 0BFAFAFA FF0055FF
	v_mul_f32_dpp v254, v255, v126 quad_perm:[2,2,2,2] row_mask:0xf bank_mask:0xf// 00000001E734: 0BFCFCFA FF00AAFF
	v_mul_f32_dpp v255, v255, v127 quad_perm:[3,3,3,3] row_mask:0xf bank_mask:0xf// 00000001E73C: 0BFEFEFA FF00FFFF
	v_mov_b32_e32 v48, 0x358637bd                              // 00000001E744: 7E6002FF 358637BD
	v_max3_f32 v48, |v240|, |v241|, v48                        // 00000001E74C: D1D30330 04C3E3F0
	v_max3_f32 v48, |v242|, |v243|, v48                        // 00000001E754: D1D30330 04C3E7F2
	v_max3_f32 v48, |v244|, |v245|, v48                        // 00000001E75C: D1D30330 04C3EBF4
	v_max3_f32 v48, |v246|, |v247|, v48                        // 00000001E764: D1D30330 04C3EFF6
	v_max3_f32 v48, |v248|, |v249|, v48                        // 00000001E76C: D1D30330 04C3F3F8
	v_max3_f32 v48, |v250|, |v251|, v48                        // 00000001E774: D1D30330 04C3F7FA
	v_max3_f32 v48, |v252|, |v253|, v48                        // 00000001E77C: D1D30330 04C3FBFC
	v_max3_f32 v48, |v254|, |v255|, v48                        // 00000001E784: D1D30330 04C3FFFE
	buffer_load_dwordx4 a[76:79], v33, s[20:23], 0 offen       // 00000001E78C: E05C1000 80854C21
	ds_write_b32 v8, v48 offset:20992                          // 00000001E794: D81A5200 00003008
	v_sub_f32_e32 v49, v11, v15                                // 00000001E79C: 04621F0B
	v_cndmask_b32_e64 v49, v49, 0, s[40:41]                    // 00000001E7A0: D1000031 00A10131
	v_mov_b32_e32 v11, v15                                     // 00000001E7A8: 7E16030F
	v_mul_f32_e32 v49, s64, v49                                // 00000001E7AC: 0A626240
	v_exp_f32_e32 v49, v49                                     // 00000001E7B0: 7E624131
	s_waitcnt lgkmcnt(0)                                       // 00000001E7B4: BF8CC07F
	s_barrier                                                  // 00000001E7B8: BF8A0000
	ds_read_b32 v64, v7 offset:20992                           // 00000001E7BC: D86C5200 40000007
	ds_read_b32 v65, v7 offset:21056                           // 00000001E7C4: D86C5240 41000007
	ds_read_b32 v66, v7 offset:21120                           // 00000001E7CC: D86C5280 42000007
	ds_read_b32 v67, v7 offset:21184                           // 00000001E7D4: D86C52C0 43000007
	ds_read_b32 v68, v7 offset:21248                           // 00000001E7DC: D86C5300 44000007
	ds_read_b32 v69, v7 offset:21312                           // 00000001E7E4: D86C5340 45000007
	ds_read_b32 v70, v7 offset:21376                           // 00000001E7EC: D86C5380 46000007
	ds_read_b32 v71, v7 offset:21440                           // 00000001E7F4: D86C53C0 47000007
	ds_read_b32 v72, v7 offset:21504                           // 00000001E7FC: D86C5400 48000007
	ds_read_b32 v73, v7 offset:21568                           // 00000001E804: D86C5440 49000007
	ds_read_b32 v74, v7 offset:21632                           // 00000001E80C: D86C5480 4A000007
	ds_read_b32 v75, v7 offset:21696                           // 00000001E814: D86C54C0 4B000007
	ds_read_b32 v76, v7 offset:21760                           // 00000001E81C: D86C5500 4C000007
	ds_read_b32 v77, v7 offset:21824                           // 00000001E824: D86C5540 4D000007
	ds_read_b32 v78, v7 offset:21888                           // 00000001E82C: D86C5580 4E000007
	ds_read_b32 v79, v7 offset:21952                           // 00000001E834: D86C55C0 4F000007
	v_mul_f32_e32 v38, v49, v38                                // 00000001E83C: 0A4C4D31
	v_mov_b32_e32 v15, v112                                    // 00000001E840: 7E1E0370
	v_add_f32_e32 v15, v113, v15                               // 00000001E844: 021E1F71
	v_add_f32_e32 v15, v114, v15                               // 00000001E848: 021E1F72
	v_add_f32_e32 v15, v115, v15                               // 00000001E84C: 021E1F73
	v_add_f32_e32 v15, v116, v15                               // 00000001E850: 021E1F74
	v_add_f32_e32 v15, v117, v15                               // 00000001E854: 021E1F75
	v_add_f32_e32 v15, v118, v15                               // 00000001E858: 021E1F76
	v_add_f32_e32 v15, v119, v15                               // 00000001E85C: 021E1F77
	v_add_f32_e32 v15, v120, v15                               // 00000001E860: 021E1F78
	v_add_f32_e32 v15, v121, v15                               // 00000001E864: 021E1F79
	v_add_f32_e32 v15, v122, v15                               // 00000001E868: 021E1F7A
	v_add_f32_e32 v15, v123, v15                               // 00000001E86C: 021E1F7B
	v_add_f32_e32 v15, v124, v15                               // 00000001E870: 021E1F7C
	v_add_f32_e32 v15, v125, v15                               // 00000001E874: 021E1F7D
	v_add_f32_e32 v15, v126, v15                               // 00000001E878: 021E1F7E
	v_add_f32_e32 v15, v127, v15                               // 00000001E87C: 021E1F7F
	v_add_f32_e32 v38, v15, v38                                // 00000001E880: 024C4D0F
	s_waitcnt lgkmcnt(0)                                       // 00000001E884: BF8CC07F
	v_max3_f32 v48, |v64|, |v65|, v48                          // 00000001E888: D1D30330 04C28340
	v_max3_f32 v48, |v66|, |v67|, v48                          // 00000001E890: D1D30330 04C28742
	v_max3_f32 v48, |v68|, |v69|, v48                          // 00000001E898: D1D30330 04C28B44
	v_max3_f32 v48, |v70|, |v71|, v48                          // 00000001E8A0: D1D30330 04C28F46
	v_max3_f32 v48, |v72|, |v73|, v48                          // 00000001E8A8: D1D30330 04C29348
	v_max3_f32 v48, |v74|, |v75|, v48                          // 00000001E8B0: D1D30330 04C2974A
	v_max3_f32 v48, |v76|, |v77|, v48                          // 00000001E8B8: D1D30330 04C29B4C
	v_max3_f32 v48, |v78|, |v79|, v48                          // 00000001E8C0: D1D30330 04C29F4E
	s_nop 2                                                    // 00000001E8C8: BF800002
	v_rcp_f32_e32 v48, v48                                     // 00000001E8CC: 7E604530
	s_nop 1                                                    // 00000001E8D0: BF800001
	v_mul_f32_e32 v48, 0x42fe0000, v48                         // 00000001E8D4: 0A6060FF 42FE0000
	v_mul_f32_e32 v112, v48, v240                              // 00000001E8DC: 0AE1E130
	v_mul_f32_e32 v113, v48, v241                              // 00000001E8E0: 0AE3E330
	v_mul_f32_e32 v114, v48, v242                              // 00000001E8E4: 0AE5E530
	v_mul_f32_e32 v115, v48, v243                              // 00000001E8E8: 0AE7E730
	v_mul_f32_e32 v116, v48, v244                              // 00000001E8EC: 0AE9E930
	v_mul_f32_e32 v117, v48, v245                              // 00000001E8F0: 0AEBEB30
	v_mul_f32_e32 v118, v48, v246                              // 00000001E8F4: 0AEDED30
	v_mul_f32_e32 v119, v48, v247                              // 00000001E8F8: 0AEFEF30
	v_mul_f32_e32 v120, v48, v248                              // 00000001E8FC: 0AF1F130
	v_mul_f32_e32 v121, v48, v249                              // 00000001E900: 0AF3F330
	v_mul_f32_e32 v122, v48, v250                              // 00000001E904: 0AF5F530
	v_mul_f32_e32 v123, v48, v251                              // 00000001E908: 0AF7F730
	v_mul_f32_e32 v124, v48, v252                              // 00000001E90C: 0AF9F930
	v_mul_f32_e32 v125, v48, v253                              // 00000001E910: 0AFBFB30
	v_mul_f32_e32 v126, v48, v254                              // 00000001E914: 0AFDFD30
	v_mul_f32_e32 v127, v48, v255                              // 00000001E918: 0AFFFF30
	v_cvt_i32_f32_e32 v112, v112                               // 00000001E91C: 7EE01170
	v_cvt_i32_f32_e32 v113, v113                               // 00000001E920: 7EE21171
	v_cvt_i32_f32_e32 v114, v114                               // 00000001E924: 7EE41172
	v_cvt_i32_f32_e32 v115, v115                               // 00000001E928: 7EE61173
	v_cvt_i32_f32_e32 v116, v116                               // 00000001E92C: 7EE81174
	v_cvt_i32_f32_e32 v117, v117                               // 00000001E930: 7EEA1175
	v_cvt_i32_f32_e32 v118, v118                               // 00000001E934: 7EEC1176
	v_cvt_i32_f32_e32 v119, v119                               // 00000001E938: 7EEE1177
	v_cvt_i32_f32_e32 v120, v120                               // 00000001E93C: 7EF01178
	v_cvt_i32_f32_e32 v121, v121                               // 00000001E940: 7EF21179
	v_cvt_i32_f32_e32 v122, v122                               // 00000001E944: 7EF4117A
	v_cvt_i32_f32_e32 v123, v123                               // 00000001E948: 7EF6117B
	v_cvt_i32_f32_e32 v124, v124                               // 00000001E94C: 7EF8117C
	v_cvt_i32_f32_e32 v125, v125                               // 00000001E950: 7EFA117D
	v_cvt_i32_f32_e32 v126, v126                               // 00000001E954: 7EFC117E
	v_cvt_i32_f32_e32 v127, v127                               // 00000001E958: 7EFE117F
	v_perm_b32 v112, v113, v112, s53                           // 00000001E95C: D1ED0070 00D6E171
	v_perm_b32 v112, v114, v112, s54                           // 00000001E964: D1ED0070 00DAE172
	v_perm_b32 v112, v115, v112, s55                           // 00000001E96C: D1ED0070 00DEE173
	v_perm_b32 v113, v117, v116, s53                           // 00000001E974: D1ED0071 00D6E975
	v_perm_b32 v113, v118, v113, s54                           // 00000001E97C: D1ED0071 00DAE376
	v_perm_b32 v113, v119, v113, s55                           // 00000001E984: D1ED0071 00DEE377
	v_perm_b32 v114, v121, v120, s53                           // 00000001E98C: D1ED0072 00D6F179
	v_perm_b32 v114, v122, v114, s54                           // 00000001E994: D1ED0072 00DAE57A
	v_perm_b32 v114, v123, v114, s55                           // 00000001E99C: D1ED0072 00DEE57B
	v_perm_b32 v115, v125, v124, s53                           // 00000001E9A4: D1ED0073 00D6F97D
	v_perm_b32 v115, v126, v115, s54                           // 00000001E9AC: D1ED0073 00DAE77E
	v_perm_b32 v115, v127, v115, s55                           // 00000001E9B4: D1ED0073 00DEE77F
	ds_write_b32 v10, v112 offset:25088                        // 00000001E9BC: D81A6200 0000700A
	ds_write_b32 v10, v113 offset:26112                        // 00000001E9C4: D81A6600 0000710A
	ds_write_b32 v10, v114 offset:27136                        // 00000001E9CC: D81A6A00 0000720A
	ds_write_b32 v10, v115 offset:28160                        // 00000001E9D4: D81A6E00 0000730A
	v_add_f32_e32 v208, v208, v176                             // 00000001E9DC: 03A161D0
	v_add_f32_e32 v209, v209, v177                             // 00000001E9E0: 03A363D1
	v_add_f32_e32 v210, v210, v178                             // 00000001E9E4: 03A565D2
	v_add_f32_e32 v211, v211, v179                             // 00000001E9E8: 03A767D3
	v_add_f32_e32 v212, v212, v180                             // 00000001E9EC: 03A969D4
	v_add_f32_e32 v213, v213, v181                             // 00000001E9F0: 03AB6BD5
	v_add_f32_e32 v214, v214, v182                             // 00000001E9F4: 03AD6DD6
	v_add_f32_e32 v215, v215, v183                             // 00000001E9F8: 03AF6FD7
	v_rcp_f32_e32 v44, v48                                     // 00000001E9FC: 7E584530
	s_waitcnt lgkmcnt(0)                                       // 00000001EA00: BF8CC07F
	s_barrier                                                  // 00000001EA04: BF8A0000
	ds_read_b64 v[112:113], v9 offset:25088                    // 00000001EA08: D8EC6200 70000009
	ds_read_b64 v[114:115], v9 offset:25216                    // 00000001EA10: D8EC6280 72000009
	ds_read_b64 v[116:117], v9 offset:26112                    // 00000001EA18: D8EC6600 74000009
	ds_read_b64 v[118:119], v9 offset:26240                    // 00000001EA20: D8EC6680 76000009
	ds_read_b64 v[120:121], v9 offset:27136                    // 00000001EA28: D8EC6A00 78000009
	ds_read_b64 v[122:123], v9 offset:27264                    // 00000001EA30: D8EC6A80 7A000009
	ds_read_b64 v[124:125], v9 offset:28160                    // 00000001EA38: D8EC6E00 7C000009
	ds_read_b64 v[126:127], v9 offset:28288                    // 00000001EA40: D8EC6E80 7E000009
	v_mov_b32_dpp v64, v43 row_shr:4 row_mask:0xf bank_mask:0xf// 00000001EA48: 7E8002FA FF01142B
	v_mov_b32_dpp v65, v43 row_shl:4 row_mask:0xf bank_mask:0xf// 00000001EA50: 7E8202FA FF01042B
	v_cndmask_b32_e64 v248, v43, v64, s[44:45]                 // 00000001EA58: D10000F8 00B2812B
	v_cndmask_b32_e64 v249, v65, v43, s[44:45]                 // 00000001EA60: D10000F9 00B25741
	v_mov_b32_dpp v64, v248 row_shr:8 row_mask:0xf bank_mask:0xf// 00000001EA68: 7E8002FA FF0118F8
	v_mov_b32_dpp v65, v248 row_shl:8 row_mask:0xf bank_mask:0xf// 00000001EA70: 7E8202FA FF0108F8
	v_mov_b32_dpp v66, v249 row_shr:8 row_mask:0xf bank_mask:0xf// 00000001EA78: 7E8402FA FF0118F9
	v_mov_b32_dpp v67, v249 row_shl:8 row_mask:0xf bank_mask:0xf// 00000001EA80: 7E8602FA FF0108F9
	v_mov_b32_e32 v68, v248                                    // 00000001EA88: 7E8803F8
	v_mov_b32_e32 v69, v249                                    // 00000001EA8C: 7E8A03F9
	v_cndmask_b32_e64 v248, v68, v64, s[42:43]                 // 00000001EA90: D10000F8 00AA8144
	v_cndmask_b32_e64 v250, v68, v65, s[78:79]                 // 00000001EA98: D10000FA 013A8344
	v_cndmask_b32_e64 v249, v69, v66, s[42:43]                 // 00000001EAA0: D10000F9 00AA8545
	v_cndmask_b32_e64 v251, v69, v67, s[78:79]                 // 00000001EAA8: D10000FB 013A8745
	v_mov_b32_dpp v64, v58 row_shr:4 row_mask:0xf bank_mask:0xf// 00000001EAB0: 7E8002FA FF01143A
	v_mov_b32_dpp v65, v58 row_shl:4 row_mask:0xf bank_mask:0xf// 00000001EAB8: 7E8202FA FF01043A
	v_cndmask_b32_e64 v252, v58, v64, s[44:45]                 // 00000001EAC0: D10000FC 00B2813A
	v_cndmask_b32_e64 v253, v65, v58, s[44:45]                 // 00000001EAC8: D10000FD 00B27541
	v_mov_b32_dpp v64, v252 row_shr:8 row_mask:0xf bank_mask:0xf// 00000001EAD0: 7E8002FA FF0118FC
	v_mov_b32_dpp v65, v252 row_shl:8 row_mask:0xf bank_mask:0xf// 00000001EAD8: 7E8202FA FF0108FC
	v_mov_b32_dpp v66, v253 row_shr:8 row_mask:0xf bank_mask:0xf// 00000001EAE0: 7E8402FA FF0118FD
	v_mov_b32_dpp v67, v253 row_shl:8 row_mask:0xf bank_mask:0xf// 00000001EAE8: 7E8602FA FF0108FD
	v_mov_b32_e32 v68, v252                                    // 00000001EAF0: 7E8803FC
	v_mov_b32_e32 v69, v253                                    // 00000001EAF4: 7E8A03FD
	v_cndmask_b32_e64 v252, v68, v64, s[42:43]                 // 00000001EAF8: D10000FC 00AA8144
	v_cndmask_b32_e64 v254, v68, v65, s[78:79]                 // 00000001EB00: D10000FE 013A8344
	v_cndmask_b32_e64 v253, v69, v66, s[42:43]                 // 00000001EB08: D10000FD 00AA8545
	v_cndmask_b32_e64 v255, v69, v67, s[78:79]                 // 00000001EB10: D10000FF 013A8745
	v_cvt_f32_i32_e32 v128, v128                               // 00000001EB18: 7F000B80
	v_cvt_f32_i32_e32 v129, v129                               // 00000001EB1C: 7F020B81
	v_cvt_f32_i32_e32 v130, v130                               // 00000001EB20: 7F040B82
	v_cvt_f32_i32_e32 v131, v131                               // 00000001EB24: 7F060B83
	v_cvt_f32_i32_e32 v132, v132                               // 00000001EB28: 7F080B84
	v_cvt_f32_i32_e32 v133, v133                               // 00000001EB2C: 7F0A0B85
	v_cvt_f32_i32_e32 v134, v134                               // 00000001EB30: 7F0C0B86
	v_cvt_f32_i32_e32 v135, v135                               // 00000001EB34: 7F0E0B87
	v_cvt_f32_i32_e32 v136, v136                               // 00000001EB38: 7F100B88
	v_cvt_f32_i32_e32 v137, v137                               // 00000001EB3C: 7F120B89
	v_cvt_f32_i32_e32 v138, v138                               // 00000001EB40: 7F140B8A
	v_cvt_f32_i32_e32 v139, v139                               // 00000001EB44: 7F160B8B
	v_cvt_f32_i32_e32 v140, v140                               // 00000001EB48: 7F180B8C
	v_cvt_f32_i32_e32 v141, v141                               // 00000001EB4C: 7F1A0B8D
	v_cvt_f32_i32_e32 v142, v142                               // 00000001EB50: 7F1C0B8E
	v_cvt_f32_i32_e32 v143, v143                               // 00000001EB54: 7F1E0B8F
	v_mul_f32_e32 v128, v19, v128                              // 00000001EB58: 0B010113
	v_mul_f32_e32 v129, v19, v129                              // 00000001EB5C: 0B030313
	v_mul_f32_e32 v130, v19, v130                              // 00000001EB60: 0B050513
	v_mul_f32_e32 v131, v19, v131                              // 00000001EB64: 0B070713
	v_mul_f32_e32 v132, v19, v132                              // 00000001EB68: 0B090913
	v_mul_f32_e32 v133, v19, v133                              // 00000001EB6C: 0B0B0B13
	v_mul_f32_e32 v134, v19, v134                              // 00000001EB70: 0B0D0D13
	v_mul_f32_e32 v135, v19, v135                              // 00000001EB74: 0B0F0F13
	v_mul_f32_e32 v136, v19, v136                              // 00000001EB78: 0B111113
	v_mul_f32_e32 v137, v19, v137                              // 00000001EB7C: 0B131313
	v_mul_f32_e32 v138, v19, v138                              // 00000001EB80: 0B151513
	v_mul_f32_e32 v139, v19, v139                              // 00000001EB84: 0B171713
	v_mul_f32_e32 v140, v19, v140                              // 00000001EB88: 0B191913
	v_mul_f32_e32 v141, v19, v141                              // 00000001EB8C: 0B1B1B13
	v_mul_f32_e32 v142, v19, v142                              // 00000001EB90: 0B1D1D13
	v_mul_f32_e32 v143, v19, v143                              // 00000001EB94: 0B1F1F13
	v_mul_f32_dpp v128, v248, v128 quad_perm:[0,0,0,0] row_mask:0xf bank_mask:0xf// 00000001EB98: 0B0100FA FF0000F8
	v_mul_f32_dpp v129, v248, v129 quad_perm:[1,1,1,1] row_mask:0xf bank_mask:0xf// 00000001EBA0: 0B0302FA FF0055F8
	v_mul_f32_dpp v130, v248, v130 quad_perm:[2,2,2,2] row_mask:0xf bank_mask:0xf// 00000001EBA8: 0B0504FA FF00AAF8
	v_mul_f32_dpp v131, v248, v131 quad_perm:[3,3,3,3] row_mask:0xf bank_mask:0xf// 00000001EBB0: 0B0706FA FF00FFF8
	v_mul_f32_dpp v132, v249, v132 quad_perm:[0,0,0,0] row_mask:0xf bank_mask:0xf// 00000001EBB8: 0B0908FA FF0000F9
	v_mul_f32_dpp v133, v249, v133 quad_perm:[1,1,1,1] row_mask:0xf bank_mask:0xf// 00000001EBC0: 0B0B0AFA FF0055F9
	v_mul_f32_dpp v134, v249, v134 quad_perm:[2,2,2,2] row_mask:0xf bank_mask:0xf// 00000001EBC8: 0B0D0CFA FF00AAF9
	v_mul_f32_dpp v135, v249, v135 quad_perm:[3,3,3,3] row_mask:0xf bank_mask:0xf// 00000001EBD0: 0B0F0EFA FF00FFF9
	v_mul_f32_dpp v136, v250, v136 quad_perm:[0,0,0,0] row_mask:0xf bank_mask:0xf// 00000001EBD8: 0B1110FA FF0000FA
	v_mul_f32_dpp v137, v250, v137 quad_perm:[1,1,1,1] row_mask:0xf bank_mask:0xf// 00000001EBE0: 0B1312FA FF0055FA
	v_mul_f32_dpp v138, v250, v138 quad_perm:[2,2,2,2] row_mask:0xf bank_mask:0xf// 00000001EBE8: 0B1514FA FF00AAFA
	v_mul_f32_dpp v139, v250, v139 quad_perm:[3,3,3,3] row_mask:0xf bank_mask:0xf// 00000001EBF0: 0B1716FA FF00FFFA
	v_mul_f32_dpp v140, v251, v140 quad_perm:[0,0,0,0] row_mask:0xf bank_mask:0xf// 00000001EBF8: 0B1918FA FF0000FB
	v_mul_f32_dpp v141, v251, v141 quad_perm:[1,1,1,1] row_mask:0xf bank_mask:0xf// 00000001EC00: 0B1B1AFA FF0055FB
	v_mul_f32_dpp v142, v251, v142 quad_perm:[2,2,2,2] row_mask:0xf bank_mask:0xf// 00000001EC08: 0B1D1CFA FF00AAFB
	v_mul_f32_dpp v143, v251, v143 quad_perm:[3,3,3,3] row_mask:0xf bank_mask:0xf// 00000001EC10: 0B1F1EFA FF00FFFB
	v_mov_b32_e32 v48, v128                                    // 00000001EC18: 7E600380
	v_max3_f32 v48, v128, v129, v48                            // 00000001EC1C: D1D30030 04C30380
	v_max3_f32 v48, v130, v131, v48                            // 00000001EC24: D1D30030 04C30782
	v_max3_f32 v48, v132, v133, v48                            // 00000001EC2C: D1D30030 04C30B84
	v_max3_f32 v48, v134, v135, v48                            // 00000001EC34: D1D30030 04C30F86
	v_max3_f32 v48, v136, v137, v48                            // 00000001EC3C: D1D30030 04C31388
	v_max3_f32 v48, v138, v139, v48                            // 00000001EC44: D1D30030 04C3178A
	v_max3_f32 v48, v140, v141, v48                            // 00000001EC4C: D1D30030 04C31B8C
	v_max3_f32 v48, v142, v143, v48                            // 00000001EC54: D1D30030 04C31F8E
	ds_write_b32 v8, v48 offset:16896                          // 00000001EC5C: D81A4200 00003008
	v_mul_f32_e32 v216, v50, v216                              // 00000001EC64: 0BB1B132
	v_mul_f32_e32 v217, v50, v217                              // 00000001EC68: 0BB3B332
	v_mul_f32_e32 v218, v50, v218                              // 00000001EC6C: 0BB5B532
	v_mul_f32_e32 v219, v50, v219                              // 00000001EC70: 0BB7B732
	v_mul_f32_e32 v220, v50, v220                              // 00000001EC74: 0BB9B932
	v_mul_f32_e32 v221, v50, v221                              // 00000001EC78: 0BBBBB32
	v_mul_f32_e32 v222, v50, v222                              // 00000001EC7C: 0BBDBD32
	v_mul_f32_e32 v223, v50, v223                              // 00000001EC80: 0BBFBF32
	s_waitcnt lgkmcnt(0)                                       // 00000001EC84: BF8CC07F
	s_barrier                                                  // 00000001EC88: BF8A0000
	ds_read_b32 v64, v7 offset:16896                           // 00000001EC8C: D86C4200 40000007
	ds_read_b32 v65, v7 offset:16960                           // 00000001EC94: D86C4240 41000007
	ds_read_b32 v66, v7 offset:17024                           // 00000001EC9C: D86C4280 42000007
	ds_read_b32 v67, v7 offset:17088                           // 00000001ECA4: D86C42C0 43000007
	ds_read_b32 v68, v7 offset:17152                           // 00000001ECAC: D86C4300 44000007
	ds_read_b32 v69, v7 offset:17216                           // 00000001ECB4: D86C4340 45000007
	ds_read_b32 v70, v7 offset:17280                           // 00000001ECBC: D86C4380 46000007
	ds_read_b32 v71, v7 offset:17344                           // 00000001ECC4: D86C43C0 47000007
	ds_read_b32 v72, v7 offset:17408                           // 00000001ECCC: D86C4400 48000007
	ds_read_b32 v73, v7 offset:17472                           // 00000001ECD4: D86C4440 49000007
	ds_read_b32 v74, v7 offset:17536                           // 00000001ECDC: D86C4480 4A000007
	ds_read_b32 v75, v7 offset:17600                           // 00000001ECE4: D86C44C0 4B000007
	ds_read_b32 v76, v7 offset:17664                           // 00000001ECEC: D86C4500 4C000007
	ds_read_b32 v77, v7 offset:17728                           // 00000001ECF4: D86C4540 4D000007
	ds_read_b32 v78, v7 offset:17792                           // 00000001ECFC: D86C4580 4E000007
	ds_read_b32 v79, v7 offset:17856                           // 00000001ED04: D86C45C0 4F000007
	v_cvt_f32_i32_e32 v184, v184                               // 00000001ED0C: 7F700BB8
	v_cvt_f32_i32_e32 v185, v185                               // 00000001ED10: 7F720BB9
	v_cvt_f32_i32_e32 v186, v186                               // 00000001ED14: 7F740BBA
	v_cvt_f32_i32_e32 v187, v187                               // 00000001ED18: 7F760BBB
	v_cvt_f32_i32_e32 v188, v188                               // 00000001ED1C: 7F780BBC
	v_cvt_f32_i32_e32 v189, v189                               // 00000001ED20: 7F7A0BBD
	v_cvt_f32_i32_e32 v190, v190                               // 00000001ED24: 7F7C0BBE
	v_cvt_f32_i32_e32 v191, v191                               // 00000001ED28: 7F7E0BBF
	v_mul_f32_e32 v184, v45, v184                              // 00000001ED2C: 0B71712D
	v_mul_f32_e32 v185, v45, v185                              // 00000001ED30: 0B73732D
	v_mul_f32_e32 v186, v45, v186                              // 00000001ED34: 0B75752D
	v_mul_f32_e32 v187, v45, v187                              // 00000001ED38: 0B77772D
	v_mul_f32_e32 v188, v45, v188                              // 00000001ED3C: 0B79792D
	v_mul_f32_e32 v189, v45, v189                              // 00000001ED40: 0B7B7B2D
	v_mul_f32_e32 v190, v45, v190                              // 00000001ED44: 0B7D7D2D
	v_mul_f32_e32 v191, v45, v191                              // 00000001ED48: 0B7F7F2D
	s_waitcnt lgkmcnt(0)                                       // 00000001ED4C: BF8CC07F
	v_max3_f32 v48, v64, v65, v48                              // 00000001ED50: D1D30030 04C28340
	v_max3_f32 v48, v66, v67, v48                              // 00000001ED58: D1D30030 04C28742
	v_max3_f32 v48, v68, v69, v48                              // 00000001ED60: D1D30030 04C28B44
	v_max3_f32 v48, v70, v71, v48                              // 00000001ED68: D1D30030 04C28F46
	v_max3_f32 v48, v72, v73, v48                              // 00000001ED70: D1D30030 04C29348
	v_max3_f32 v48, v74, v75, v48                              // 00000001ED78: D1D30030 04C2974A
	v_max3_f32 v48, v76, v77, v48                              // 00000001ED80: D1D30030 04C29B4C
	v_max3_f32 v48, v78, v79, v48                              // 00000001ED88: D1D30030 04C29F4E
	v_mov_b32_e32 v64, 0xff800000                              // 00000001ED90: 7E8002FF FF800000
	v_cmp_eq_u32_e64 s[40:41], v64, v12                        // 00000001ED98: D0CA0028 00021940
	s_nop 1                                                    // 00000001EDA0: BF800001
	v_max_f32_e32 v15, v48, v12                                // 00000001EDA4: 161E1930
	v_mul_f32_e32 v53, s64, v15                                // 00000001EDA8: 0A6A1E40
	v_fma_f32 v128, v128, s64, -v53                            // 00000001EDAC: D1CB0080 84D48180
	v_fma_f32 v129, v129, s64, -v53                            // 00000001EDB4: D1CB0081 84D48181
	v_fma_f32 v130, v130, s64, -v53                            // 00000001EDBC: D1CB0082 84D48182
	v_fma_f32 v131, v131, s64, -v53                            // 00000001EDC4: D1CB0083 84D48183
	v_fma_f32 v132, v132, s64, -v53                            // 00000001EDCC: D1CB0084 84D48184
	v_fma_f32 v133, v133, s64, -v53                            // 00000001EDD4: D1CB0085 84D48185
	v_fma_f32 v134, v134, s64, -v53                            // 00000001EDDC: D1CB0086 84D48186
	v_fma_f32 v135, v135, s64, -v53                            // 00000001EDE4: D1CB0087 84D48187
	v_fma_f32 v136, v136, s64, -v53                            // 00000001EDEC: D1CB0088 84D48188
	v_fma_f32 v137, v137, s64, -v53                            // 00000001EDF4: D1CB0089 84D48189
	v_fma_f32 v138, v138, s64, -v53                            // 00000001EDFC: D1CB008A 84D4818A
	v_fma_f32 v139, v139, s64, -v53                            // 00000001EE04: D1CB008B 84D4818B
	v_fma_f32 v140, v140, s64, -v53                            // 00000001EE0C: D1CB008C 84D4818C
	v_fma_f32 v141, v141, s64, -v53                            // 00000001EE14: D1CB008D 84D4818D
	v_fma_f32 v142, v142, s64, -v53                            // 00000001EE1C: D1CB008E 84D4818E
	v_fma_f32 v143, v143, s64, -v53                            // 00000001EE24: D1CB008F 84D4818F
	v_exp_f32_e32 v128, v128                                   // 00000001EE2C: 7F004180
	v_exp_f32_e32 v129, v129                                   // 00000001EE30: 7F024181
	v_exp_f32_e32 v130, v130                                   // 00000001EE34: 7F044182
	v_exp_f32_e32 v131, v131                                   // 00000001EE38: 7F064183
	v_exp_f32_e32 v132, v132                                   // 00000001EE3C: 7F084184
	v_exp_f32_e32 v133, v133                                   // 00000001EE40: 7F0A4185
	v_exp_f32_e32 v134, v134                                   // 00000001EE44: 7F0C4186
	v_exp_f32_e32 v135, v135                                   // 00000001EE48: 7F0E4187
	v_exp_f32_e32 v136, v136                                   // 00000001EE4C: 7F104188
	v_exp_f32_e32 v137, v137                                   // 00000001EE50: 7F124189
	v_exp_f32_e32 v138, v138                                   // 00000001EE54: 7F14418A
	v_exp_f32_e32 v139, v139                                   // 00000001EE58: 7F16418B
	v_exp_f32_e32 v140, v140                                   // 00000001EE5C: 7F18418C
	v_exp_f32_e32 v141, v141                                   // 00000001EE60: 7F1A418D
	v_exp_f32_e32 v142, v142                                   // 00000001EE64: 7F1C418E
	v_exp_f32_e32 v143, v143                                   // 00000001EE68: 7F1E418F
	v_mul_f32_dpp v240, v252, v128 quad_perm:[0,0,0,0] row_mask:0xf bank_mask:0xf// 00000001EE6C: 0BE100FA FF0000FC
	v_mul_f32_dpp v241, v252, v129 quad_perm:[1,1,1,1] row_mask:0xf bank_mask:0xf// 00000001EE74: 0BE302FA FF0055FC
	v_mul_f32_dpp v242, v252, v130 quad_perm:[2,2,2,2] row_mask:0xf bank_mask:0xf// 00000001EE7C: 0BE504FA FF00AAFC
	v_mul_f32_dpp v243, v252, v131 quad_perm:[3,3,3,3] row_mask:0xf bank_mask:0xf// 00000001EE84: 0BE706FA FF00FFFC
	v_mul_f32_dpp v244, v253, v132 quad_perm:[0,0,0,0] row_mask:0xf bank_mask:0xf// 00000001EE8C: 0BE908FA FF0000FD
	v_mul_f32_dpp v245, v253, v133 quad_perm:[1,1,1,1] row_mask:0xf bank_mask:0xf// 00000001EE94: 0BEB0AFA FF0055FD
	v_mul_f32_dpp v246, v253, v134 quad_perm:[2,2,2,2] row_mask:0xf bank_mask:0xf// 00000001EE9C: 0BED0CFA FF00AAFD
	v_mul_f32_dpp v247, v253, v135 quad_perm:[3,3,3,3] row_mask:0xf bank_mask:0xf// 00000001EEA4: 0BEF0EFA FF00FFFD
	v_mul_f32_dpp v248, v254, v136 quad_perm:[0,0,0,0] row_mask:0xf bank_mask:0xf// 00000001EEAC: 0BF110FA FF0000FE
	v_mul_f32_dpp v249, v254, v137 quad_perm:[1,1,1,1] row_mask:0xf bank_mask:0xf// 00000001EEB4: 0BF312FA FF0055FE
	v_mul_f32_dpp v250, v254, v138 quad_perm:[2,2,2,2] row_mask:0xf bank_mask:0xf// 00000001EEBC: 0BF514FA FF00AAFE
	v_mul_f32_dpp v251, v254, v139 quad_perm:[3,3,3,3] row_mask:0xf bank_mask:0xf// 00000001EEC4: 0BF716FA FF00FFFE
	v_mul_f32_dpp v252, v255, v140 quad_perm:[0,0,0,0] row_mask:0xf bank_mask:0xf// 00000001EECC: 0BF918FA FF0000FF
	v_mul_f32_dpp v253, v255, v141 quad_perm:[1,1,1,1] row_mask:0xf bank_mask:0xf// 00000001EED4: 0BFB1AFA FF0055FF
	v_mul_f32_dpp v254, v255, v142 quad_perm:[2,2,2,2] row_mask:0xf bank_mask:0xf// 00000001EEDC: 0BFD1CFA FF00AAFF
	v_mul_f32_dpp v255, v255, v143 quad_perm:[3,3,3,3] row_mask:0xf bank_mask:0xf// 00000001EEE4: 0BFF1EFA FF00FFFF
	v_mov_b32_e32 v48, 0x358637bd                              // 00000001EEEC: 7E6002FF 358637BD
	v_max3_f32 v48, |v240|, |v241|, v48                        // 00000001EEF4: D1D30330 04C3E3F0
	v_max3_f32 v48, |v242|, |v243|, v48                        // 00000001EEFC: D1D30330 04C3E7F2
	v_max3_f32 v48, |v244|, |v245|, v48                        // 00000001EF04: D1D30330 04C3EBF4
	v_max3_f32 v48, |v246|, |v247|, v48                        // 00000001EF0C: D1D30330 04C3EFF6
	v_max3_f32 v48, |v248|, |v249|, v48                        // 00000001EF14: D1D30330 04C3F3F8
	v_max3_f32 v48, |v250|, |v251|, v48                        // 00000001EF1C: D1D30330 04C3F7FA
	v_max3_f32 v48, |v252|, |v253|, v48                        // 00000001EF24: D1D30330 04C3FBFC
	v_max3_f32 v48, |v254|, |v255|, v48                        // 00000001EF2C: D1D30330 04C3FFFE
	ds_write_b32 v8, v48 offset:20992                          // 00000001EF34: D81A5200 00003008
	v_sub_f32_e32 v50, v12, v15                                // 00000001EF3C: 04641F0C
	v_cndmask_b32_e64 v50, v50, 0, s[40:41]                    // 00000001EF40: D1000032 00A10132
	v_mov_b32_e32 v12, v15                                     // 00000001EF48: 7E18030F
	v_mul_f32_e32 v50, s64, v50                                // 00000001EF4C: 0A646440
	v_exp_f32_e32 v50, v50                                     // 00000001EF50: 7E644132
	s_waitcnt lgkmcnt(0)                                       // 00000001EF54: BF8CC07F
	s_barrier                                                  // 00000001EF58: BF8A0000
	ds_read_b32 v64, v7 offset:20992                           // 00000001EF5C: D86C5200 40000007
	ds_read_b32 v65, v7 offset:21056                           // 00000001EF64: D86C5240 41000007
	ds_read_b32 v66, v7 offset:21120                           // 00000001EF6C: D86C5280 42000007
	ds_read_b32 v67, v7 offset:21184                           // 00000001EF74: D86C52C0 43000007
	ds_read_b32 v68, v7 offset:21248                           // 00000001EF7C: D86C5300 44000007
	ds_read_b32 v69, v7 offset:21312                           // 00000001EF84: D86C5340 45000007
	ds_read_b32 v70, v7 offset:21376                           // 00000001EF8C: D86C5380 46000007
	ds_read_b32 v71, v7 offset:21440                           // 00000001EF94: D86C53C0 47000007
	ds_read_b32 v72, v7 offset:21504                           // 00000001EF9C: D86C5400 48000007
	ds_read_b32 v73, v7 offset:21568                           // 00000001EFA4: D86C5440 49000007
	ds_read_b32 v74, v7 offset:21632                           // 00000001EFAC: D86C5480 4A000007
	ds_read_b32 v75, v7 offset:21696                           // 00000001EFB4: D86C54C0 4B000007
	ds_read_b32 v76, v7 offset:21760                           // 00000001EFBC: D86C5500 4C000007
	ds_read_b32 v77, v7 offset:21824                           // 00000001EFC4: D86C5540 4D000007
	ds_read_b32 v78, v7 offset:21888                           // 00000001EFCC: D86C5580 4E000007
	ds_read_b32 v79, v7 offset:21952                           // 00000001EFD4: D86C55C0 4F000007
	v_mul_f32_e32 v39, v50, v39                                // 00000001EFDC: 0A4E4F32
	v_mov_b32_e32 v15, v128                                    // 00000001EFE0: 7E1E0380
	v_add_f32_e32 v15, v129, v15                               // 00000001EFE4: 021E1F81
	v_add_f32_e32 v15, v130, v15                               // 00000001EFE8: 021E1F82
	v_add_f32_e32 v15, v131, v15                               // 00000001EFEC: 021E1F83
	v_add_f32_e32 v15, v132, v15                               // 00000001EFF0: 021E1F84
	v_add_f32_e32 v15, v133, v15                               // 00000001EFF4: 021E1F85
	v_add_f32_e32 v15, v134, v15                               // 00000001EFF8: 021E1F86
	v_add_f32_e32 v15, v135, v15                               // 00000001EFFC: 021E1F87
	v_add_f32_e32 v15, v136, v15                               // 00000001F000: 021E1F88
	v_add_f32_e32 v15, v137, v15                               // 00000001F004: 021E1F89
	v_add_f32_e32 v15, v138, v15                               // 00000001F008: 021E1F8A
	v_add_f32_e32 v15, v139, v15                               // 00000001F00C: 021E1F8B
	v_add_f32_e32 v15, v140, v15                               // 00000001F010: 021E1F8C
	v_add_f32_e32 v15, v141, v15                               // 00000001F014: 021E1F8D
	v_add_f32_e32 v15, v142, v15                               // 00000001F018: 021E1F8E
	v_add_f32_e32 v15, v143, v15                               // 00000001F01C: 021E1F8F
	v_add_f32_e32 v39, v15, v39                                // 00000001F020: 024E4F0F
	s_waitcnt lgkmcnt(0)                                       // 00000001F024: BF8CC07F
	v_max3_f32 v48, |v64|, |v65|, v48                          // 00000001F028: D1D30330 04C28340
	v_max3_f32 v48, |v66|, |v67|, v48                          // 00000001F030: D1D30330 04C28742
	v_max3_f32 v48, |v68|, |v69|, v48                          // 00000001F038: D1D30330 04C28B44
	v_max3_f32 v48, |v70|, |v71|, v48                          // 00000001F040: D1D30330 04C28F46
	v_max3_f32 v48, |v72|, |v73|, v48                          // 00000001F048: D1D30330 04C29348
	v_max3_f32 v48, |v74|, |v75|, v48                          // 00000001F050: D1D30330 04C2974A
	v_max3_f32 v48, |v76|, |v77|, v48                          // 00000001F058: D1D30330 04C29B4C
	v_max3_f32 v48, |v78|, |v79|, v48                          // 00000001F060: D1D30330 04C29F4E
	s_nop 2                                                    // 00000001F068: BF800002
	v_rcp_f32_e32 v48, v48                                     // 00000001F06C: 7E604530
	s_nop 1                                                    // 00000001F070: BF800001
	v_mul_f32_e32 v48, 0x42fe0000, v48                         // 00000001F074: 0A6060FF 42FE0000
	v_mul_f32_e32 v128, v48, v240                              // 00000001F07C: 0B01E130
	v_mul_f32_e32 v129, v48, v241                              // 00000001F080: 0B03E330
	v_mul_f32_e32 v130, v48, v242                              // 00000001F084: 0B05E530
	v_mul_f32_e32 v131, v48, v243                              // 00000001F088: 0B07E730
	v_mul_f32_e32 v132, v48, v244                              // 00000001F08C: 0B09E930
	v_mul_f32_e32 v133, v48, v245                              // 00000001F090: 0B0BEB30
	v_mul_f32_e32 v134, v48, v246                              // 00000001F094: 0B0DED30
	v_mul_f32_e32 v135, v48, v247                              // 00000001F098: 0B0FEF30
	v_mul_f32_e32 v136, v48, v248                              // 00000001F09C: 0B11F130
	v_mul_f32_e32 v137, v48, v249                              // 00000001F0A0: 0B13F330
	v_mul_f32_e32 v138, v48, v250                              // 00000001F0A4: 0B15F530
	v_mul_f32_e32 v139, v48, v251                              // 00000001F0A8: 0B17F730
	v_mul_f32_e32 v140, v48, v252                              // 00000001F0AC: 0B19F930
	v_mul_f32_e32 v141, v48, v253                              // 00000001F0B0: 0B1BFB30
	v_mul_f32_e32 v142, v48, v254                              // 00000001F0B4: 0B1DFD30
	v_mul_f32_e32 v143, v48, v255                              // 00000001F0B8: 0B1FFF30
	v_cvt_i32_f32_e32 v128, v128                               // 00000001F0BC: 7F001180
	v_cvt_i32_f32_e32 v129, v129                               // 00000001F0C0: 7F021181
	v_cvt_i32_f32_e32 v130, v130                               // 00000001F0C4: 7F041182
	v_cvt_i32_f32_e32 v131, v131                               // 00000001F0C8: 7F061183
	v_cvt_i32_f32_e32 v132, v132                               // 00000001F0CC: 7F081184
	v_cvt_i32_f32_e32 v133, v133                               // 00000001F0D0: 7F0A1185
	v_cvt_i32_f32_e32 v134, v134                               // 00000001F0D4: 7F0C1186
	v_cvt_i32_f32_e32 v135, v135                               // 00000001F0D8: 7F0E1187
	v_cvt_i32_f32_e32 v136, v136                               // 00000001F0DC: 7F101188
	v_cvt_i32_f32_e32 v137, v137                               // 00000001F0E0: 7F121189
	v_cvt_i32_f32_e32 v138, v138                               // 00000001F0E4: 7F14118A
	v_cvt_i32_f32_e32 v139, v139                               // 00000001F0E8: 7F16118B
	v_cvt_i32_f32_e32 v140, v140                               // 00000001F0EC: 7F18118C
	v_cvt_i32_f32_e32 v141, v141                               // 00000001F0F0: 7F1A118D
	v_cvt_i32_f32_e32 v142, v142                               // 00000001F0F4: 7F1C118E
	v_cvt_i32_f32_e32 v143, v143                               // 00000001F0F8: 7F1E118F
	v_perm_b32 v128, v129, v128, s53                           // 00000001F0FC: D1ED0080 00D70181
	v_perm_b32 v128, v130, v128, s54                           // 00000001F104: D1ED0080 00DB0182
	v_perm_b32 v128, v131, v128, s55                           // 00000001F10C: D1ED0080 00DF0183
	v_perm_b32 v129, v133, v132, s53                           // 00000001F114: D1ED0081 00D70985
	v_perm_b32 v129, v134, v129, s54                           // 00000001F11C: D1ED0081 00DB0386
	v_perm_b32 v129, v135, v129, s55                           // 00000001F124: D1ED0081 00DF0387
	v_perm_b32 v130, v137, v136, s53                           // 00000001F12C: D1ED0082 00D71189
	v_perm_b32 v130, v138, v130, s54                           // 00000001F134: D1ED0082 00DB058A
	v_perm_b32 v130, v139, v130, s55                           // 00000001F13C: D1ED0082 00DF058B
	v_perm_b32 v131, v141, v140, s53                           // 00000001F144: D1ED0083 00D7198D
	v_perm_b32 v131, v142, v131, s54                           // 00000001F14C: D1ED0083 00DB078E
	v_perm_b32 v131, v143, v131, s55                           // 00000001F154: D1ED0083 00DF078F
	ds_write_b32 v10, v128 offset:29184                        // 00000001F15C: D81A7200 0000800A
	ds_write_b32 v10, v129 offset:30208                        // 00000001F164: D81A7600 0000810A
	ds_write_b32 v10, v130 offset:31232                        // 00000001F16C: D81A7A00 0000820A
	ds_write_b32 v10, v131 offset:32256                        // 00000001F174: D81A7E00 0000830A
	v_add_f32_e32 v216, v216, v184                             // 00000001F17C: 03B171D8
	v_add_f32_e32 v217, v217, v185                             // 00000001F180: 03B373D9
	v_add_f32_e32 v218, v218, v186                             // 00000001F184: 03B575DA
	v_add_f32_e32 v219, v219, v187                             // 00000001F188: 03B777DB
	v_add_f32_e32 v220, v220, v188                             // 00000001F18C: 03B979DC
	v_add_f32_e32 v221, v221, v189                             // 00000001F190: 03BB7BDD
	v_add_f32_e32 v222, v222, v190                             // 00000001F194: 03BD7DDE
	v_add_f32_e32 v223, v223, v191                             // 00000001F198: 03BF7FDF
	v_rcp_f32_e32 v45, v48                                     // 00000001F19C: 7E5A4530
	s_waitcnt lgkmcnt(0)                                       // 00000001F1A0: BF8CC07F
	s_barrier                                                  // 00000001F1A4: BF8A0000
	ds_read_b64 v[128:129], v9 offset:29184                    // 00000001F1A8: D8EC7200 80000009
	ds_read_b64 v[130:131], v9 offset:29312                    // 00000001F1B0: D8EC7280 82000009
	ds_read_b64 v[132:133], v9 offset:30208                    // 00000001F1B8: D8EC7600 84000009
	ds_read_b64 v[134:135], v9 offset:30336                    // 00000001F1C0: D8EC7680 86000009
	ds_read_b64 v[136:137], v9 offset:31232                    // 00000001F1C8: D8EC7A00 88000009
	ds_read_b64 v[138:139], v9 offset:31360                    // 00000001F1D0: D8EC7A80 8A000009
	ds_read_b64 v[140:141], v9 offset:32256                    // 00000001F1D8: D8EC7E00 8C000009
	ds_read_b64 v[142:143], v9 offset:32384                    // 00000001F1E0: D8EC7E80 8E000009
	v_mov_b32_dpp v64, v43 row_shr:4 row_mask:0xf bank_mask:0xf// 00000001F1E8: 7E8002FA FF01142B
	v_mov_b32_dpp v65, v43 row_shl:4 row_mask:0xf bank_mask:0xf// 00000001F1F0: 7E8202FA FF01042B
	v_cndmask_b32_e64 v248, v43, v64, s[44:45]                 // 00000001F1F8: D10000F8 00B2812B
	v_cndmask_b32_e64 v249, v65, v43, s[44:45]                 // 00000001F200: D10000F9 00B25741
	v_mov_b32_dpp v64, v248 row_shr:8 row_mask:0xf bank_mask:0xf// 00000001F208: 7E8002FA FF0118F8
	v_mov_b32_dpp v65, v248 row_shl:8 row_mask:0xf bank_mask:0xf// 00000001F210: 7E8202FA FF0108F8
	v_mov_b32_dpp v66, v249 row_shr:8 row_mask:0xf bank_mask:0xf// 00000001F218: 7E8402FA FF0118F9
	v_mov_b32_dpp v67, v249 row_shl:8 row_mask:0xf bank_mask:0xf// 00000001F220: 7E8602FA FF0108F9
	v_mov_b32_e32 v68, v248                                    // 00000001F228: 7E8803F8
	v_mov_b32_e32 v69, v249                                    // 00000001F22C: 7E8A03F9
	v_cndmask_b32_e64 v248, v68, v64, s[42:43]                 // 00000001F230: D10000F8 00AA8144
	v_cndmask_b32_e64 v250, v68, v65, s[78:79]                 // 00000001F238: D10000FA 013A8344
	v_cndmask_b32_e64 v249, v69, v66, s[42:43]                 // 00000001F240: D10000F9 00AA8545
	v_cndmask_b32_e64 v251, v69, v67, s[78:79]                 // 00000001F248: D10000FB 013A8745
	v_mov_b32_dpp v64, v58 row_shr:4 row_mask:0xf bank_mask:0xf// 00000001F250: 7E8002FA FF01143A
	v_mov_b32_dpp v65, v58 row_shl:4 row_mask:0xf bank_mask:0xf// 00000001F258: 7E8202FA FF01043A
	v_cndmask_b32_e64 v252, v58, v64, s[44:45]                 // 00000001F260: D10000FC 00B2813A
	v_cndmask_b32_e64 v253, v65, v58, s[44:45]                 // 00000001F268: D10000FD 00B27541
	v_mov_b32_dpp v64, v252 row_shr:8 row_mask:0xf bank_mask:0xf// 00000001F270: 7E8002FA FF0118FC
	v_mov_b32_dpp v65, v252 row_shl:8 row_mask:0xf bank_mask:0xf// 00000001F278: 7E8202FA FF0108FC
	v_mov_b32_dpp v66, v253 row_shr:8 row_mask:0xf bank_mask:0xf// 00000001F280: 7E8402FA FF0118FD
	v_mov_b32_dpp v67, v253 row_shl:8 row_mask:0xf bank_mask:0xf// 00000001F288: 7E8602FA FF0108FD
	v_mov_b32_e32 v68, v252                                    // 00000001F290: 7E8803FC
	v_mov_b32_e32 v69, v253                                    // 00000001F294: 7E8A03FD
	v_cndmask_b32_e64 v252, v68, v64, s[42:43]                 // 00000001F298: D10000FC 00AA8144
	v_cndmask_b32_e64 v254, v68, v65, s[78:79]                 // 00000001F2A0: D10000FE 013A8344
	v_cndmask_b32_e64 v253, v69, v66, s[42:43]                 // 00000001F2A8: D10000FD 00AA8545
	v_cndmask_b32_e64 v255, v69, v67, s[78:79]                 // 00000001F2B0: D10000FF 013A8745
	v_cvt_f32_i32_e32 v144, v144                               // 00000001F2B8: 7F200B90
	v_cvt_f32_i32_e32 v145, v145                               // 00000001F2BC: 7F220B91
	v_cvt_f32_i32_e32 v146, v146                               // 00000001F2C0: 7F240B92
	v_cvt_f32_i32_e32 v147, v147                               // 00000001F2C4: 7F260B93
	v_cvt_f32_i32_e32 v148, v148                               // 00000001F2C8: 7F280B94
	v_cvt_f32_i32_e32 v149, v149                               // 00000001F2CC: 7F2A0B95
	v_cvt_f32_i32_e32 v150, v150                               // 00000001F2D0: 7F2C0B96
	v_cvt_f32_i32_e32 v151, v151                               // 00000001F2D4: 7F2E0B97
	v_cvt_f32_i32_e32 v152, v152                               // 00000001F2D8: 7F300B98
	v_cvt_f32_i32_e32 v153, v153                               // 00000001F2DC: 7F320B99
	v_cvt_f32_i32_e32 v154, v154                               // 00000001F2E0: 7F340B9A
	v_cvt_f32_i32_e32 v155, v155                               // 00000001F2E4: 7F360B9B
	v_cvt_f32_i32_e32 v156, v156                               // 00000001F2E8: 7F380B9C
	v_cvt_f32_i32_e32 v157, v157                               // 00000001F2EC: 7F3A0B9D
	v_cvt_f32_i32_e32 v158, v158                               // 00000001F2F0: 7F3C0B9E
	v_cvt_f32_i32_e32 v159, v159                               // 00000001F2F4: 7F3E0B9F
	v_mul_f32_e32 v144, v20, v144                              // 00000001F2F8: 0B212114
	v_mul_f32_e32 v145, v20, v145                              // 00000001F2FC: 0B232314
	v_mul_f32_e32 v146, v20, v146                              // 00000001F300: 0B252514
	v_mul_f32_e32 v147, v20, v147                              // 00000001F304: 0B272714
	v_mul_f32_e32 v148, v20, v148                              // 00000001F308: 0B292914
	v_mul_f32_e32 v149, v20, v149                              // 00000001F30C: 0B2B2B14
	v_mul_f32_e32 v150, v20, v150                              // 00000001F310: 0B2D2D14
	v_mul_f32_e32 v151, v20, v151                              // 00000001F314: 0B2F2F14
	v_mul_f32_e32 v152, v20, v152                              // 00000001F318: 0B313114
	v_mul_f32_e32 v153, v20, v153                              // 00000001F31C: 0B333314
	v_mul_f32_e32 v154, v20, v154                              // 00000001F320: 0B353514
	v_mul_f32_e32 v155, v20, v155                              // 00000001F324: 0B373714
	v_mul_f32_e32 v156, v20, v156                              // 00000001F328: 0B393914
	v_mul_f32_e32 v157, v20, v157                              // 00000001F32C: 0B3B3B14
	v_mul_f32_e32 v158, v20, v158                              // 00000001F330: 0B3D3D14
	v_mul_f32_e32 v159, v20, v159                              // 00000001F334: 0B3F3F14
	v_mul_f32_dpp v144, v248, v144 quad_perm:[0,0,0,0] row_mask:0xf bank_mask:0xf// 00000001F338: 0B2120FA FF0000F8
	v_mul_f32_dpp v145, v248, v145 quad_perm:[1,1,1,1] row_mask:0xf bank_mask:0xf// 00000001F340: 0B2322FA FF0055F8
	v_mul_f32_dpp v146, v248, v146 quad_perm:[2,2,2,2] row_mask:0xf bank_mask:0xf// 00000001F348: 0B2524FA FF00AAF8
	v_mul_f32_dpp v147, v248, v147 quad_perm:[3,3,3,3] row_mask:0xf bank_mask:0xf// 00000001F350: 0B2726FA FF00FFF8
	v_mul_f32_dpp v148, v249, v148 quad_perm:[0,0,0,0] row_mask:0xf bank_mask:0xf// 00000001F358: 0B2928FA FF0000F9
	v_mul_f32_dpp v149, v249, v149 quad_perm:[1,1,1,1] row_mask:0xf bank_mask:0xf// 00000001F360: 0B2B2AFA FF0055F9
	v_mul_f32_dpp v150, v249, v150 quad_perm:[2,2,2,2] row_mask:0xf bank_mask:0xf// 00000001F368: 0B2D2CFA FF00AAF9
	v_mul_f32_dpp v151, v249, v151 quad_perm:[3,3,3,3] row_mask:0xf bank_mask:0xf// 00000001F370: 0B2F2EFA FF00FFF9
	v_mul_f32_dpp v152, v250, v152 quad_perm:[0,0,0,0] row_mask:0xf bank_mask:0xf// 00000001F378: 0B3130FA FF0000FA
	v_mul_f32_dpp v153, v250, v153 quad_perm:[1,1,1,1] row_mask:0xf bank_mask:0xf// 00000001F380: 0B3332FA FF0055FA
	v_mul_f32_dpp v154, v250, v154 quad_perm:[2,2,2,2] row_mask:0xf bank_mask:0xf// 00000001F388: 0B3534FA FF00AAFA
	v_mul_f32_dpp v155, v250, v155 quad_perm:[3,3,3,3] row_mask:0xf bank_mask:0xf// 00000001F390: 0B3736FA FF00FFFA
	v_mul_f32_dpp v156, v251, v156 quad_perm:[0,0,0,0] row_mask:0xf bank_mask:0xf// 00000001F398: 0B3938FA FF0000FB
	v_mul_f32_dpp v157, v251, v157 quad_perm:[1,1,1,1] row_mask:0xf bank_mask:0xf// 00000001F3A0: 0B3B3AFA FF0055FB
	v_mul_f32_dpp v158, v251, v158 quad_perm:[2,2,2,2] row_mask:0xf bank_mask:0xf// 00000001F3A8: 0B3D3CFA FF00AAFB
	v_mul_f32_dpp v159, v251, v159 quad_perm:[3,3,3,3] row_mask:0xf bank_mask:0xf// 00000001F3B0: 0B3F3EFA FF00FFFB
	v_mov_b32_e32 v48, v144                                    // 00000001F3B8: 7E600390
	v_max3_f32 v48, v144, v145, v48                            // 00000001F3BC: D1D30030 04C32390
	v_max3_f32 v48, v146, v147, v48                            // 00000001F3C4: D1D30030 04C32792
	v_max3_f32 v48, v148, v149, v48                            // 00000001F3CC: D1D30030 04C32B94
	v_max3_f32 v48, v150, v151, v48                            // 00000001F3D4: D1D30030 04C32F96
	v_max3_f32 v48, v152, v153, v48                            // 00000001F3DC: D1D30030 04C33398
	v_max3_f32 v48, v154, v155, v48                            // 00000001F3E4: D1D30030 04C3379A
	v_max3_f32 v48, v156, v157, v48                            // 00000001F3EC: D1D30030 04C33B9C
	v_max3_f32 v48, v158, v159, v48                            // 00000001F3F4: D1D30030 04C33F9E
	ds_write_b32 v8, v48 offset:16896                          // 00000001F3FC: D81A4200 00003008
	v_mul_f32_e32 v224, v51, v224                              // 00000001F404: 0BC1C133
	v_mul_f32_e32 v225, v51, v225                              // 00000001F408: 0BC3C333
	v_mul_f32_e32 v226, v51, v226                              // 00000001F40C: 0BC5C533
	v_mul_f32_e32 v227, v51, v227                              // 00000001F410: 0BC7C733
	v_mul_f32_e32 v228, v51, v228                              // 00000001F414: 0BC9C933
	v_mul_f32_e32 v229, v51, v229                              // 00000001F418: 0BCBCB33
	v_mul_f32_e32 v230, v51, v230                              // 00000001F41C: 0BCDCD33
	v_mul_f32_e32 v231, v51, v231                              // 00000001F420: 0BCFCF33
	s_waitcnt lgkmcnt(0)                                       // 00000001F424: BF8CC07F
	s_barrier                                                  // 00000001F428: BF8A0000
	ds_read_b32 v64, v7 offset:16896                           // 00000001F42C: D86C4200 40000007
	ds_read_b32 v65, v7 offset:16960                           // 00000001F434: D86C4240 41000007
	ds_read_b32 v66, v7 offset:17024                           // 00000001F43C: D86C4280 42000007
	ds_read_b32 v67, v7 offset:17088                           // 00000001F444: D86C42C0 43000007
	ds_read_b32 v68, v7 offset:17152                           // 00000001F44C: D86C4300 44000007
	ds_read_b32 v69, v7 offset:17216                           // 00000001F454: D86C4340 45000007
	ds_read_b32 v70, v7 offset:17280                           // 00000001F45C: D86C4380 46000007
	ds_read_b32 v71, v7 offset:17344                           // 00000001F464: D86C43C0 47000007
	ds_read_b32 v72, v7 offset:17408                           // 00000001F46C: D86C4400 48000007
	ds_read_b32 v73, v7 offset:17472                           // 00000001F474: D86C4440 49000007
	ds_read_b32 v74, v7 offset:17536                           // 00000001F47C: D86C4480 4A000007
	ds_read_b32 v75, v7 offset:17600                           // 00000001F484: D86C44C0 4B000007
	ds_read_b32 v76, v7 offset:17664                           // 00000001F48C: D86C4500 4C000007
	ds_read_b32 v77, v7 offset:17728                           // 00000001F494: D86C4540 4D000007
	ds_read_b32 v78, v7 offset:17792                           // 00000001F49C: D86C4580 4E000007
	ds_read_b32 v79, v7 offset:17856                           // 00000001F4A4: D86C45C0 4F000007
	v_cvt_f32_i32_e32 v192, v192                               // 00000001F4AC: 7F800BC0
	v_cvt_f32_i32_e32 v193, v193                               // 00000001F4B0: 7F820BC1
	v_cvt_f32_i32_e32 v194, v194                               // 00000001F4B4: 7F840BC2
	v_cvt_f32_i32_e32 v195, v195                               // 00000001F4B8: 7F860BC3
	v_cvt_f32_i32_e32 v196, v196                               // 00000001F4BC: 7F880BC4
	v_cvt_f32_i32_e32 v197, v197                               // 00000001F4C0: 7F8A0BC5
	v_cvt_f32_i32_e32 v198, v198                               // 00000001F4C4: 7F8C0BC6
	v_cvt_f32_i32_e32 v199, v199                               // 00000001F4C8: 7F8E0BC7
	v_mul_f32_e32 v192, v46, v192                              // 00000001F4CC: 0B81812E
	v_mul_f32_e32 v193, v46, v193                              // 00000001F4D0: 0B83832E
	v_mul_f32_e32 v194, v46, v194                              // 00000001F4D4: 0B85852E
	v_mul_f32_e32 v195, v46, v195                              // 00000001F4D8: 0B87872E
	v_mul_f32_e32 v196, v46, v196                              // 00000001F4DC: 0B89892E
	v_mul_f32_e32 v197, v46, v197                              // 00000001F4E0: 0B8B8B2E
	v_mul_f32_e32 v198, v46, v198                              // 00000001F4E4: 0B8D8D2E
	v_mul_f32_e32 v199, v46, v199                              // 00000001F4E8: 0B8F8F2E
	s_waitcnt lgkmcnt(0)                                       // 00000001F4EC: BF8CC07F
	v_max3_f32 v48, v64, v65, v48                              // 00000001F4F0: D1D30030 04C28340
	v_max3_f32 v48, v66, v67, v48                              // 00000001F4F8: D1D30030 04C28742
	v_max3_f32 v48, v68, v69, v48                              // 00000001F500: D1D30030 04C28B44
	v_max3_f32 v48, v70, v71, v48                              // 00000001F508: D1D30030 04C28F46
	v_max3_f32 v48, v72, v73, v48                              // 00000001F510: D1D30030 04C29348
	v_max3_f32 v48, v74, v75, v48                              // 00000001F518: D1D30030 04C2974A
	v_max3_f32 v48, v76, v77, v48                              // 00000001F520: D1D30030 04C29B4C
	v_max3_f32 v48, v78, v79, v48                              // 00000001F528: D1D30030 04C29F4E
	v_mov_b32_e32 v64, 0xff800000                              // 00000001F530: 7E8002FF FF800000
	v_cmp_eq_u32_e64 s[40:41], v64, v13                        // 00000001F538: D0CA0028 00021B40
	s_nop 1                                                    // 00000001F540: BF800001
	v_max_f32_e32 v15, v48, v13                                // 00000001F544: 161E1B30
	v_mul_f32_e32 v53, s64, v15                                // 00000001F548: 0A6A1E40
	v_fma_f32 v144, v144, s64, -v53                            // 00000001F54C: D1CB0090 84D48190
	v_fma_f32 v145, v145, s64, -v53                            // 00000001F554: D1CB0091 84D48191
	v_fma_f32 v146, v146, s64, -v53                            // 00000001F55C: D1CB0092 84D48192
	v_fma_f32 v147, v147, s64, -v53                            // 00000001F564: D1CB0093 84D48193
	v_fma_f32 v148, v148, s64, -v53                            // 00000001F56C: D1CB0094 84D48194
	v_fma_f32 v149, v149, s64, -v53                            // 00000001F574: D1CB0095 84D48195
	v_fma_f32 v150, v150, s64, -v53                            // 00000001F57C: D1CB0096 84D48196
	v_fma_f32 v151, v151, s64, -v53                            // 00000001F584: D1CB0097 84D48197
	v_fma_f32 v152, v152, s64, -v53                            // 00000001F58C: D1CB0098 84D48198
	v_fma_f32 v153, v153, s64, -v53                            // 00000001F594: D1CB0099 84D48199
	v_fma_f32 v154, v154, s64, -v53                            // 00000001F59C: D1CB009A 84D4819A
	v_fma_f32 v155, v155, s64, -v53                            // 00000001F5A4: D1CB009B 84D4819B
	v_fma_f32 v156, v156, s64, -v53                            // 00000001F5AC: D1CB009C 84D4819C
	v_fma_f32 v157, v157, s64, -v53                            // 00000001F5B4: D1CB009D 84D4819D
	v_fma_f32 v158, v158, s64, -v53                            // 00000001F5BC: D1CB009E 84D4819E
	v_fma_f32 v159, v159, s64, -v53                            // 00000001F5C4: D1CB009F 84D4819F
	v_exp_f32_e32 v144, v144                                   // 00000001F5CC: 7F204190
	v_exp_f32_e32 v145, v145                                   // 00000001F5D0: 7F224191
	v_exp_f32_e32 v146, v146                                   // 00000001F5D4: 7F244192
	v_exp_f32_e32 v147, v147                                   // 00000001F5D8: 7F264193
	v_exp_f32_e32 v148, v148                                   // 00000001F5DC: 7F284194
	v_exp_f32_e32 v149, v149                                   // 00000001F5E0: 7F2A4195
	v_exp_f32_e32 v150, v150                                   // 00000001F5E4: 7F2C4196
	v_exp_f32_e32 v151, v151                                   // 00000001F5E8: 7F2E4197
	v_exp_f32_e32 v152, v152                                   // 00000001F5EC: 7F304198
	v_exp_f32_e32 v153, v153                                   // 00000001F5F0: 7F324199
	v_exp_f32_e32 v154, v154                                   // 00000001F5F4: 7F34419A
	v_exp_f32_e32 v155, v155                                   // 00000001F5F8: 7F36419B
	v_exp_f32_e32 v156, v156                                   // 00000001F5FC: 7F38419C
	v_exp_f32_e32 v157, v157                                   // 00000001F600: 7F3A419D
	v_exp_f32_e32 v158, v158                                   // 00000001F604: 7F3C419E
	v_exp_f32_e32 v159, v159                                   // 00000001F608: 7F3E419F
	v_mul_f32_dpp v240, v252, v144 quad_perm:[0,0,0,0] row_mask:0xf bank_mask:0xf// 00000001F60C: 0BE120FA FF0000FC
	v_mul_f32_dpp v241, v252, v145 quad_perm:[1,1,1,1] row_mask:0xf bank_mask:0xf// 00000001F614: 0BE322FA FF0055FC
	v_mul_f32_dpp v242, v252, v146 quad_perm:[2,2,2,2] row_mask:0xf bank_mask:0xf// 00000001F61C: 0BE524FA FF00AAFC
	v_mul_f32_dpp v243, v252, v147 quad_perm:[3,3,3,3] row_mask:0xf bank_mask:0xf// 00000001F624: 0BE726FA FF00FFFC
	v_mul_f32_dpp v244, v253, v148 quad_perm:[0,0,0,0] row_mask:0xf bank_mask:0xf// 00000001F62C: 0BE928FA FF0000FD
	v_mul_f32_dpp v245, v253, v149 quad_perm:[1,1,1,1] row_mask:0xf bank_mask:0xf// 00000001F634: 0BEB2AFA FF0055FD
	v_mul_f32_dpp v246, v253, v150 quad_perm:[2,2,2,2] row_mask:0xf bank_mask:0xf// 00000001F63C: 0BED2CFA FF00AAFD
	v_mul_f32_dpp v247, v253, v151 quad_perm:[3,3,3,3] row_mask:0xf bank_mask:0xf// 00000001F644: 0BEF2EFA FF00FFFD
	v_mul_f32_dpp v248, v254, v152 quad_perm:[0,0,0,0] row_mask:0xf bank_mask:0xf// 00000001F64C: 0BF130FA FF0000FE
	v_mul_f32_dpp v249, v254, v153 quad_perm:[1,1,1,1] row_mask:0xf bank_mask:0xf// 00000001F654: 0BF332FA FF0055FE
	v_mul_f32_dpp v250, v254, v154 quad_perm:[2,2,2,2] row_mask:0xf bank_mask:0xf// 00000001F65C: 0BF534FA FF00AAFE
	v_mul_f32_dpp v251, v254, v155 quad_perm:[3,3,3,3] row_mask:0xf bank_mask:0xf// 00000001F664: 0BF736FA FF00FFFE
	v_mul_f32_dpp v252, v255, v156 quad_perm:[0,0,0,0] row_mask:0xf bank_mask:0xf// 00000001F66C: 0BF938FA FF0000FF
	v_mul_f32_dpp v253, v255, v157 quad_perm:[1,1,1,1] row_mask:0xf bank_mask:0xf// 00000001F674: 0BFB3AFA FF0055FF
	v_mul_f32_dpp v254, v255, v158 quad_perm:[2,2,2,2] row_mask:0xf bank_mask:0xf// 00000001F67C: 0BFD3CFA FF00AAFF
	v_mul_f32_dpp v255, v255, v159 quad_perm:[3,3,3,3] row_mask:0xf bank_mask:0xf// 00000001F684: 0BFF3EFA FF00FFFF
	v_mov_b32_e32 v48, 0x358637bd                              // 00000001F68C: 7E6002FF 358637BD
	v_max3_f32 v48, |v240|, |v241|, v48                        // 00000001F694: D1D30330 04C3E3F0
	v_max3_f32 v48, |v242|, |v243|, v48                        // 00000001F69C: D1D30330 04C3E7F2
	v_max3_f32 v48, |v244|, |v245|, v48                        // 00000001F6A4: D1D30330 04C3EBF4
	v_max3_f32 v48, |v246|, |v247|, v48                        // 00000001F6AC: D1D30330 04C3EFF6
	v_max3_f32 v48, |v248|, |v249|, v48                        // 00000001F6B4: D1D30330 04C3F3F8
	v_max3_f32 v48, |v250|, |v251|, v48                        // 00000001F6BC: D1D30330 04C3F7FA
	v_max3_f32 v48, |v252|, |v253|, v48                        // 00000001F6C4: D1D30330 04C3FBFC
	v_max3_f32 v48, |v254|, |v255|, v48                        // 00000001F6CC: D1D30330 04C3FFFE
	ds_write_b32 v8, v48 offset:20992                          // 00000001F6D4: D81A5200 00003008
	v_sub_f32_e32 v51, v13, v15                                // 00000001F6DC: 04661F0D
	v_cndmask_b32_e64 v51, v51, 0, s[40:41]                    // 00000001F6E0: D1000033 00A10133
	v_mov_b32_e32 v13, v15                                     // 00000001F6E8: 7E1A030F
	v_mul_f32_e32 v51, s64, v51                                // 00000001F6EC: 0A666640
	v_exp_f32_e32 v51, v51                                     // 00000001F6F0: 7E664133
	s_waitcnt lgkmcnt(0)                                       // 00000001F6F4: BF8CC07F
	s_barrier                                                  // 00000001F6F8: BF8A0000
	ds_read_b32 v64, v7 offset:20992                           // 00000001F6FC: D86C5200 40000007
	ds_read_b32 v65, v7 offset:21056                           // 00000001F704: D86C5240 41000007
	ds_read_b32 v66, v7 offset:21120                           // 00000001F70C: D86C5280 42000007
	ds_read_b32 v67, v7 offset:21184                           // 00000001F714: D86C52C0 43000007
	ds_read_b32 v68, v7 offset:21248                           // 00000001F71C: D86C5300 44000007
	ds_read_b32 v69, v7 offset:21312                           // 00000001F724: D86C5340 45000007
	ds_read_b32 v70, v7 offset:21376                           // 00000001F72C: D86C5380 46000007
	ds_read_b32 v71, v7 offset:21440                           // 00000001F734: D86C53C0 47000007
	ds_read_b32 v72, v7 offset:21504                           // 00000001F73C: D86C5400 48000007
	ds_read_b32 v73, v7 offset:21568                           // 00000001F744: D86C5440 49000007
	ds_read_b32 v74, v7 offset:21632                           // 00000001F74C: D86C5480 4A000007
	ds_read_b32 v75, v7 offset:21696                           // 00000001F754: D86C54C0 4B000007
	ds_read_b32 v76, v7 offset:21760                           // 00000001F75C: D86C5500 4C000007
	ds_read_b32 v77, v7 offset:21824                           // 00000001F764: D86C5540 4D000007
	ds_read_b32 v78, v7 offset:21888                           // 00000001F76C: D86C5580 4E000007
	ds_read_b32 v79, v7 offset:21952                           // 00000001F774: D86C55C0 4F000007
	v_mul_f32_e32 v40, v51, v40                                // 00000001F77C: 0A505133
	v_mov_b32_e32 v15, v144                                    // 00000001F780: 7E1E0390
	v_add_f32_e32 v15, v145, v15                               // 00000001F784: 021E1F91
	v_add_f32_e32 v15, v146, v15                               // 00000001F788: 021E1F92
	v_add_f32_e32 v15, v147, v15                               // 00000001F78C: 021E1F93
	v_add_f32_e32 v15, v148, v15                               // 00000001F790: 021E1F94
	v_add_f32_e32 v15, v149, v15                               // 00000001F794: 021E1F95
	v_add_f32_e32 v15, v150, v15                               // 00000001F798: 021E1F96
	v_add_f32_e32 v15, v151, v15                               // 00000001F79C: 021E1F97
	v_add_f32_e32 v15, v152, v15                               // 00000001F7A0: 021E1F98
	v_add_f32_e32 v15, v153, v15                               // 00000001F7A4: 021E1F99
	v_add_f32_e32 v15, v154, v15                               // 00000001F7A8: 021E1F9A
	v_add_f32_e32 v15, v155, v15                               // 00000001F7AC: 021E1F9B
	v_add_f32_e32 v15, v156, v15                               // 00000001F7B0: 021E1F9C
	v_add_f32_e32 v15, v157, v15                               // 00000001F7B4: 021E1F9D
	v_add_f32_e32 v15, v158, v15                               // 00000001F7B8: 021E1F9E
	v_add_f32_e32 v15, v159, v15                               // 00000001F7BC: 021E1F9F
	v_add_f32_e32 v40, v15, v40                                // 00000001F7C0: 0250510F
	s_waitcnt lgkmcnt(0)                                       // 00000001F7C4: BF8CC07F
	v_max3_f32 v48, |v64|, |v65|, v48                          // 00000001F7C8: D1D30330 04C28340
	v_max3_f32 v48, |v66|, |v67|, v48                          // 00000001F7D0: D1D30330 04C28742
	v_max3_f32 v48, |v68|, |v69|, v48                          // 00000001F7D8: D1D30330 04C28B44
	v_max3_f32 v48, |v70|, |v71|, v48                          // 00000001F7E0: D1D30330 04C28F46
	v_max3_f32 v48, |v72|, |v73|, v48                          // 00000001F7E8: D1D30330 04C29348
	v_max3_f32 v48, |v74|, |v75|, v48                          // 00000001F7F0: D1D30330 04C2974A
	v_max3_f32 v48, |v76|, |v77|, v48                          // 00000001F7F8: D1D30330 04C29B4C
	v_max3_f32 v48, |v78|, |v79|, v48                          // 00000001F800: D1D30330 04C29F4E
	s_nop 2                                                    // 00000001F808: BF800002
	v_rcp_f32_e32 v48, v48                                     // 00000001F80C: 7E604530
	s_nop 1                                                    // 00000001F810: BF800001
	v_mul_f32_e32 v48, 0x42fe0000, v48                         // 00000001F814: 0A6060FF 42FE0000
	v_mul_f32_e32 v144, v48, v240                              // 00000001F81C: 0B21E130
	v_mul_f32_e32 v145, v48, v241                              // 00000001F820: 0B23E330
	v_mul_f32_e32 v146, v48, v242                              // 00000001F824: 0B25E530
	v_mul_f32_e32 v147, v48, v243                              // 00000001F828: 0B27E730
	v_mul_f32_e32 v148, v48, v244                              // 00000001F82C: 0B29E930
	v_mul_f32_e32 v149, v48, v245                              // 00000001F830: 0B2BEB30
	v_mul_f32_e32 v150, v48, v246                              // 00000001F834: 0B2DED30
	v_mul_f32_e32 v151, v48, v247                              // 00000001F838: 0B2FEF30
	v_mul_f32_e32 v152, v48, v248                              // 00000001F83C: 0B31F130
	v_mul_f32_e32 v153, v48, v249                              // 00000001F840: 0B33F330
	v_mul_f32_e32 v154, v48, v250                              // 00000001F844: 0B35F530
	v_mul_f32_e32 v155, v48, v251                              // 00000001F848: 0B37F730
	v_mul_f32_e32 v156, v48, v252                              // 00000001F84C: 0B39F930
	v_mul_f32_e32 v157, v48, v253                              // 00000001F850: 0B3BFB30
	v_mul_f32_e32 v158, v48, v254                              // 00000001F854: 0B3DFD30
	v_mul_f32_e32 v159, v48, v255                              // 00000001F858: 0B3FFF30
	v_cvt_i32_f32_e32 v144, v144                               // 00000001F85C: 7F201190
	v_cvt_i32_f32_e32 v145, v145                               // 00000001F860: 7F221191
	v_cvt_i32_f32_e32 v146, v146                               // 00000001F864: 7F241192
	v_cvt_i32_f32_e32 v147, v147                               // 00000001F868: 7F261193
	v_cvt_i32_f32_e32 v148, v148                               // 00000001F86C: 7F281194
	v_cvt_i32_f32_e32 v149, v149                               // 00000001F870: 7F2A1195
	v_cvt_i32_f32_e32 v150, v150                               // 00000001F874: 7F2C1196
	v_cvt_i32_f32_e32 v151, v151                               // 00000001F878: 7F2E1197
	v_cvt_i32_f32_e32 v152, v152                               // 00000001F87C: 7F301198
	v_cvt_i32_f32_e32 v153, v153                               // 00000001F880: 7F321199
	v_cvt_i32_f32_e32 v154, v154                               // 00000001F884: 7F34119A
	v_cvt_i32_f32_e32 v155, v155                               // 00000001F888: 7F36119B
	v_cvt_i32_f32_e32 v156, v156                               // 00000001F88C: 7F38119C
	v_cvt_i32_f32_e32 v157, v157                               // 00000001F890: 7F3A119D
	v_cvt_i32_f32_e32 v158, v158                               // 00000001F894: 7F3C119E
	v_cvt_i32_f32_e32 v159, v159                               // 00000001F898: 7F3E119F
	v_perm_b32 v144, v145, v144, s53                           // 00000001F89C: D1ED0090 00D72191
	v_perm_b32 v144, v146, v144, s54                           // 00000001F8A4: D1ED0090 00DB2192
	v_perm_b32 v144, v147, v144, s55                           // 00000001F8AC: D1ED0090 00DF2193
	v_perm_b32 v145, v149, v148, s53                           // 00000001F8B4: D1ED0091 00D72995
	v_perm_b32 v145, v150, v145, s54                           // 00000001F8BC: D1ED0091 00DB2396
	v_perm_b32 v145, v151, v145, s55                           // 00000001F8C4: D1ED0091 00DF2397
	v_perm_b32 v146, v153, v152, s53                           // 00000001F8CC: D1ED0092 00D73199
	v_perm_b32 v146, v154, v146, s54                           // 00000001F8D4: D1ED0092 00DB259A
	v_perm_b32 v146, v155, v146, s55                           // 00000001F8DC: D1ED0092 00DF259B
	v_perm_b32 v147, v157, v156, s53                           // 00000001F8E4: D1ED0093 00D7399D
	v_perm_b32 v147, v158, v147, s54                           // 00000001F8EC: D1ED0093 00DB279E
	v_perm_b32 v147, v159, v147, s55                           // 00000001F8F4: D1ED0093 00DF279F
	ds_write_b32 v10, v144 offset:33280                        // 00000001F8FC: D81A8200 0000900A
	ds_write_b32 v10, v145 offset:34304                        // 00000001F904: D81A8600 0000910A
	ds_write_b32 v10, v146 offset:35328                        // 00000001F90C: D81A8A00 0000920A
	ds_write_b32 v10, v147 offset:36352                        // 00000001F914: D81A8E00 0000930A
	v_add_f32_e32 v224, v224, v192                             // 00000001F91C: 03C181E0
	v_add_f32_e32 v225, v225, v193                             // 00000001F920: 03C383E1
	v_add_f32_e32 v226, v226, v194                             // 00000001F924: 03C585E2
	v_add_f32_e32 v227, v227, v195                             // 00000001F928: 03C787E3
	v_add_f32_e32 v228, v228, v196                             // 00000001F92C: 03C989E4
	v_add_f32_e32 v229, v229, v197                             // 00000001F930: 03CB8BE5
	v_add_f32_e32 v230, v230, v198                             // 00000001F934: 03CD8DE6
	v_add_f32_e32 v231, v231, v199                             // 00000001F938: 03CF8FE7
	v_rcp_f32_e32 v46, v48                                     // 00000001F93C: 7E5C4530
	s_waitcnt lgkmcnt(0)                                       // 00000001F940: BF8CC07F
	s_barrier                                                  // 00000001F944: BF8A0000
	ds_read_b64 v[144:145], v9 offset:33280                    // 00000001F948: D8EC8200 90000009
	ds_read_b64 v[146:147], v9 offset:33408                    // 00000001F950: D8EC8280 92000009
	ds_read_b64 v[148:149], v9 offset:34304                    // 00000001F958: D8EC8600 94000009
	ds_read_b64 v[150:151], v9 offset:34432                    // 00000001F960: D8EC8680 96000009
	ds_read_b64 v[152:153], v9 offset:35328                    // 00000001F968: D8EC8A00 98000009
	ds_read_b64 v[154:155], v9 offset:35456                    // 00000001F970: D8EC8A80 9A000009
	ds_read_b64 v[156:157], v9 offset:36352                    // 00000001F978: D8EC8E00 9C000009
	ds_read_b64 v[158:159], v9 offset:36480                    // 00000001F980: D8EC8E80 9E000009
	v_mov_b32_dpp v64, v43 row_shr:4 row_mask:0xf bank_mask:0xf// 00000001F988: 7E8002FA FF01142B
	v_mov_b32_dpp v65, v43 row_shl:4 row_mask:0xf bank_mask:0xf// 00000001F990: 7E8202FA FF01042B
	v_cndmask_b32_e64 v248, v43, v64, s[44:45]                 // 00000001F998: D10000F8 00B2812B
	v_cndmask_b32_e64 v249, v65, v43, s[44:45]                 // 00000001F9A0: D10000F9 00B25741
	v_mov_b32_dpp v64, v248 row_shr:8 row_mask:0xf bank_mask:0xf// 00000001F9A8: 7E8002FA FF0118F8
	v_mov_b32_dpp v65, v248 row_shl:8 row_mask:0xf bank_mask:0xf// 00000001F9B0: 7E8202FA FF0108F8
	v_mov_b32_dpp v66, v249 row_shr:8 row_mask:0xf bank_mask:0xf// 00000001F9B8: 7E8402FA FF0118F9
	v_mov_b32_dpp v67, v249 row_shl:8 row_mask:0xf bank_mask:0xf// 00000001F9C0: 7E8602FA FF0108F9
	v_mov_b32_e32 v68, v248                                    // 00000001F9C8: 7E8803F8
	v_mov_b32_e32 v69, v249                                    // 00000001F9CC: 7E8A03F9
	v_cndmask_b32_e64 v248, v68, v64, s[42:43]                 // 00000001F9D0: D10000F8 00AA8144
	v_cndmask_b32_e64 v250, v68, v65, s[78:79]                 // 00000001F9D8: D10000FA 013A8344
	v_cndmask_b32_e64 v249, v69, v66, s[42:43]                 // 00000001F9E0: D10000F9 00AA8545
	v_cndmask_b32_e64 v251, v69, v67, s[78:79]                 // 00000001F9E8: D10000FB 013A8745
	v_mov_b32_dpp v64, v58 row_shr:4 row_mask:0xf bank_mask:0xf// 00000001F9F0: 7E8002FA FF01143A
	v_mov_b32_dpp v65, v58 row_shl:4 row_mask:0xf bank_mask:0xf// 00000001F9F8: 7E8202FA FF01043A
	v_cndmask_b32_e64 v252, v58, v64, s[44:45]                 // 00000001FA00: D10000FC 00B2813A
	v_cndmask_b32_e64 v253, v65, v58, s[44:45]                 // 00000001FA08: D10000FD 00B27541
	v_mov_b32_dpp v64, v252 row_shr:8 row_mask:0xf bank_mask:0xf// 00000001FA10: 7E8002FA FF0118FC
	v_mov_b32_dpp v65, v252 row_shl:8 row_mask:0xf bank_mask:0xf// 00000001FA18: 7E8202FA FF0108FC
	v_mov_b32_dpp v66, v253 row_shr:8 row_mask:0xf bank_mask:0xf// 00000001FA20: 7E8402FA FF0118FD
	v_mov_b32_dpp v67, v253 row_shl:8 row_mask:0xf bank_mask:0xf// 00000001FA28: 7E8602FA FF0108FD
	v_mov_b32_e32 v68, v252                                    // 00000001FA30: 7E8803FC
	v_mov_b32_e32 v69, v253                                    // 00000001FA34: 7E8A03FD
	v_cndmask_b32_e64 v252, v68, v64, s[42:43]                 // 00000001FA38: D10000FC 00AA8144
	v_cndmask_b32_e64 v254, v68, v65, s[78:79]                 // 00000001FA40: D10000FE 013A8344
	v_cndmask_b32_e64 v253, v69, v66, s[42:43]                 // 00000001FA48: D10000FD 00AA8545
	v_cndmask_b32_e64 v255, v69, v67, s[78:79]                 // 00000001FA50: D10000FF 013A8745
	v_cvt_f32_i32_e32 v160, v160                               // 00000001FA58: 7F400BA0
	v_cvt_f32_i32_e32 v161, v161                               // 00000001FA5C: 7F420BA1
	v_cvt_f32_i32_e32 v162, v162                               // 00000001FA60: 7F440BA2
	v_cvt_f32_i32_e32 v163, v163                               // 00000001FA64: 7F460BA3
	v_cvt_f32_i32_e32 v164, v164                               // 00000001FA68: 7F480BA4
	v_cvt_f32_i32_e32 v165, v165                               // 00000001FA6C: 7F4A0BA5
	v_cvt_f32_i32_e32 v166, v166                               // 00000001FA70: 7F4C0BA6
	v_cvt_f32_i32_e32 v167, v167                               // 00000001FA74: 7F4E0BA7
	v_cvt_f32_i32_e32 v168, v168                               // 00000001FA78: 7F500BA8
	v_cvt_f32_i32_e32 v169, v169                               // 00000001FA7C: 7F520BA9
	v_cvt_f32_i32_e32 v170, v170                               // 00000001FA80: 7F540BAA
	v_cvt_f32_i32_e32 v171, v171                               // 00000001FA84: 7F560BAB
	v_cvt_f32_i32_e32 v172, v172                               // 00000001FA88: 7F580BAC
	v_cvt_f32_i32_e32 v173, v173                               // 00000001FA8C: 7F5A0BAD
	v_cvt_f32_i32_e32 v174, v174                               // 00000001FA90: 7F5C0BAE
	v_cvt_f32_i32_e32 v175, v175                               // 00000001FA94: 7F5E0BAF
	v_mul_f32_e32 v160, v21, v160                              // 00000001FA98: 0B414115
	v_mul_f32_e32 v161, v21, v161                              // 00000001FA9C: 0B434315
	v_mul_f32_e32 v162, v21, v162                              // 00000001FAA0: 0B454515
	v_mul_f32_e32 v163, v21, v163                              // 00000001FAA4: 0B474715
	v_mul_f32_e32 v164, v21, v164                              // 00000001FAA8: 0B494915
	v_mul_f32_e32 v165, v21, v165                              // 00000001FAAC: 0B4B4B15
	v_mul_f32_e32 v166, v21, v166                              // 00000001FAB0: 0B4D4D15
	v_mul_f32_e32 v167, v21, v167                              // 00000001FAB4: 0B4F4F15
	v_mul_f32_e32 v168, v21, v168                              // 00000001FAB8: 0B515115
	v_mul_f32_e32 v169, v21, v169                              // 00000001FABC: 0B535315
	v_mul_f32_e32 v170, v21, v170                              // 00000001FAC0: 0B555515
	v_mul_f32_e32 v171, v21, v171                              // 00000001FAC4: 0B575715
	v_mul_f32_e32 v172, v21, v172                              // 00000001FAC8: 0B595915
	v_mul_f32_e32 v173, v21, v173                              // 00000001FACC: 0B5B5B15
	v_mul_f32_e32 v174, v21, v174                              // 00000001FAD0: 0B5D5D15
	v_mul_f32_e32 v175, v21, v175                              // 00000001FAD4: 0B5F5F15
	v_mul_f32_dpp v160, v248, v160 quad_perm:[0,0,0,0] row_mask:0xf bank_mask:0xf// 00000001FAD8: 0B4140FA FF0000F8
	v_mul_f32_dpp v161, v248, v161 quad_perm:[1,1,1,1] row_mask:0xf bank_mask:0xf// 00000001FAE0: 0B4342FA FF0055F8
	v_mul_f32_dpp v162, v248, v162 quad_perm:[2,2,2,2] row_mask:0xf bank_mask:0xf// 00000001FAE8: 0B4544FA FF00AAF8
	v_mul_f32_dpp v163, v248, v163 quad_perm:[3,3,3,3] row_mask:0xf bank_mask:0xf// 00000001FAF0: 0B4746FA FF00FFF8
	v_mul_f32_dpp v164, v249, v164 quad_perm:[0,0,0,0] row_mask:0xf bank_mask:0xf// 00000001FAF8: 0B4948FA FF0000F9
	v_mul_f32_dpp v165, v249, v165 quad_perm:[1,1,1,1] row_mask:0xf bank_mask:0xf// 00000001FB00: 0B4B4AFA FF0055F9
	v_mul_f32_dpp v166, v249, v166 quad_perm:[2,2,2,2] row_mask:0xf bank_mask:0xf// 00000001FB08: 0B4D4CFA FF00AAF9
	v_mul_f32_dpp v167, v249, v167 quad_perm:[3,3,3,3] row_mask:0xf bank_mask:0xf// 00000001FB10: 0B4F4EFA FF00FFF9
	v_mul_f32_dpp v168, v250, v168 quad_perm:[0,0,0,0] row_mask:0xf bank_mask:0xf// 00000001FB18: 0B5150FA FF0000FA
	v_mul_f32_dpp v169, v250, v169 quad_perm:[1,1,1,1] row_mask:0xf bank_mask:0xf// 00000001FB20: 0B5352FA FF0055FA
	v_mul_f32_dpp v170, v250, v170 quad_perm:[2,2,2,2] row_mask:0xf bank_mask:0xf// 00000001FB28: 0B5554FA FF00AAFA
	v_mul_f32_dpp v171, v250, v171 quad_perm:[3,3,3,3] row_mask:0xf bank_mask:0xf// 00000001FB30: 0B5756FA FF00FFFA
	v_mul_f32_dpp v172, v251, v172 quad_perm:[0,0,0,0] row_mask:0xf bank_mask:0xf// 00000001FB38: 0B5958FA FF0000FB
	v_mul_f32_dpp v173, v251, v173 quad_perm:[1,1,1,1] row_mask:0xf bank_mask:0xf// 00000001FB40: 0B5B5AFA FF0055FB
	v_mul_f32_dpp v174, v251, v174 quad_perm:[2,2,2,2] row_mask:0xf bank_mask:0xf// 00000001FB48: 0B5D5CFA FF00AAFB
	v_mul_f32_dpp v175, v251, v175 quad_perm:[3,3,3,3] row_mask:0xf bank_mask:0xf// 00000001FB50: 0B5F5EFA FF00FFFB
	v_mov_b32_e32 v48, v160                                    // 00000001FB58: 7E6003A0
	v_max3_f32 v48, v160, v161, v48                            // 00000001FB5C: D1D30030 04C343A0
	v_max3_f32 v48, v162, v163, v48                            // 00000001FB64: D1D30030 04C347A2
	v_max3_f32 v48, v164, v165, v48                            // 00000001FB6C: D1D30030 04C34BA4
	v_max3_f32 v48, v166, v167, v48                            // 00000001FB74: D1D30030 04C34FA6
	v_max3_f32 v48, v168, v169, v48                            // 00000001FB7C: D1D30030 04C353A8
	v_max3_f32 v48, v170, v171, v48                            // 00000001FB84: D1D30030 04C357AA
	v_max3_f32 v48, v172, v173, v48                            // 00000001FB8C: D1D30030 04C35BAC
	v_max3_f32 v48, v174, v175, v48                            // 00000001FB94: D1D30030 04C35FAE
	ds_write_b32 v8, v48 offset:16896                          // 00000001FB9C: D81A4200 00003008
	v_mul_f32_e32 v232, v52, v232                              // 00000001FBA4: 0BD1D134
	v_mul_f32_e32 v233, v52, v233                              // 00000001FBA8: 0BD3D334
	v_mul_f32_e32 v234, v52, v234                              // 00000001FBAC: 0BD5D534
	v_mul_f32_e32 v235, v52, v235                              // 00000001FBB0: 0BD7D734
	v_mul_f32_e32 v236, v52, v236                              // 00000001FBB4: 0BD9D934
	v_mul_f32_e32 v237, v52, v237                              // 00000001FBB8: 0BDBDB34
	v_mul_f32_e32 v238, v52, v238                              // 00000001FBBC: 0BDDDD34
	v_mul_f32_e32 v239, v52, v239                              // 00000001FBC0: 0BDFDF34
	s_waitcnt lgkmcnt(0)                                       // 00000001FBC4: BF8CC07F
	s_barrier                                                  // 00000001FBC8: BF8A0000
	ds_read_b32 v64, v7 offset:16896                           // 00000001FBCC: D86C4200 40000007
	ds_read_b32 v65, v7 offset:16960                           // 00000001FBD4: D86C4240 41000007
	ds_read_b32 v66, v7 offset:17024                           // 00000001FBDC: D86C4280 42000007
	ds_read_b32 v67, v7 offset:17088                           // 00000001FBE4: D86C42C0 43000007
	ds_read_b32 v68, v7 offset:17152                           // 00000001FBEC: D86C4300 44000007
	ds_read_b32 v69, v7 offset:17216                           // 00000001FBF4: D86C4340 45000007
	ds_read_b32 v70, v7 offset:17280                           // 00000001FBFC: D86C4380 46000007
	ds_read_b32 v71, v7 offset:17344                           // 00000001FC04: D86C43C0 47000007
	ds_read_b32 v72, v7 offset:17408                           // 00000001FC0C: D86C4400 48000007
	ds_read_b32 v73, v7 offset:17472                           // 00000001FC14: D86C4440 49000007
	ds_read_b32 v74, v7 offset:17536                           // 00000001FC1C: D86C4480 4A000007
	ds_read_b32 v75, v7 offset:17600                           // 00000001FC24: D86C44C0 4B000007
	ds_read_b32 v76, v7 offset:17664                           // 00000001FC2C: D86C4500 4C000007
	ds_read_b32 v77, v7 offset:17728                           // 00000001FC34: D86C4540 4D000007
	ds_read_b32 v78, v7 offset:17792                           // 00000001FC3C: D86C4580 4E000007
	ds_read_b32 v79, v7 offset:17856                           // 00000001FC44: D86C45C0 4F000007
	v_cvt_f32_i32_e32 v200, v200                               // 00000001FC4C: 7F900BC8
	v_cvt_f32_i32_e32 v201, v201                               // 00000001FC50: 7F920BC9
	v_cvt_f32_i32_e32 v202, v202                               // 00000001FC54: 7F940BCA
	v_cvt_f32_i32_e32 v203, v203                               // 00000001FC58: 7F960BCB
	v_cvt_f32_i32_e32 v204, v204                               // 00000001FC5C: 7F980BCC
	v_cvt_f32_i32_e32 v205, v205                               // 00000001FC60: 7F9A0BCD
	v_cvt_f32_i32_e32 v206, v206                               // 00000001FC64: 7F9C0BCE
	v_cvt_f32_i32_e32 v207, v207                               // 00000001FC68: 7F9E0BCF
	v_mul_f32_e32 v200, v47, v200                              // 00000001FC6C: 0B91912F
	v_mul_f32_e32 v201, v47, v201                              // 00000001FC70: 0B93932F
	v_mul_f32_e32 v202, v47, v202                              // 00000001FC74: 0B95952F
	v_mul_f32_e32 v203, v47, v203                              // 00000001FC78: 0B97972F
	v_mul_f32_e32 v204, v47, v204                              // 00000001FC7C: 0B99992F
	v_mul_f32_e32 v205, v47, v205                              // 00000001FC80: 0B9B9B2F
	v_mul_f32_e32 v206, v47, v206                              // 00000001FC84: 0B9D9D2F
	v_mul_f32_e32 v207, v47, v207                              // 00000001FC88: 0B9F9F2F
	s_waitcnt lgkmcnt(0)                                       // 00000001FC8C: BF8CC07F
	v_max3_f32 v48, v64, v65, v48                              // 00000001FC90: D1D30030 04C28340
	v_max3_f32 v48, v66, v67, v48                              // 00000001FC98: D1D30030 04C28742
	v_max3_f32 v48, v68, v69, v48                              // 00000001FCA0: D1D30030 04C28B44
	v_max3_f32 v48, v70, v71, v48                              // 00000001FCA8: D1D30030 04C28F46
	v_max3_f32 v48, v72, v73, v48                              // 00000001FCB0: D1D30030 04C29348
	v_max3_f32 v48, v74, v75, v48                              // 00000001FCB8: D1D30030 04C2974A
	v_max3_f32 v48, v76, v77, v48                              // 00000001FCC0: D1D30030 04C29B4C
	v_max3_f32 v48, v78, v79, v48                              // 00000001FCC8: D1D30030 04C29F4E
	v_mov_b32_e32 v64, 0xff800000                              // 00000001FCD0: 7E8002FF FF800000
	v_cmp_eq_u32_e64 s[40:41], v64, v14                        // 00000001FCD8: D0CA0028 00021D40
	s_nop 1                                                    // 00000001FCE0: BF800001
	v_max_f32_e32 v15, v48, v14                                // 00000001FCE4: 161E1D30
	v_mul_f32_e32 v53, s64, v15                                // 00000001FCE8: 0A6A1E40
	v_fma_f32 v160, v160, s64, -v53                            // 00000001FCEC: D1CB00A0 84D481A0
	v_fma_f32 v161, v161, s64, -v53                            // 00000001FCF4: D1CB00A1 84D481A1
	v_fma_f32 v162, v162, s64, -v53                            // 00000001FCFC: D1CB00A2 84D481A2
	v_fma_f32 v163, v163, s64, -v53                            // 00000001FD04: D1CB00A3 84D481A3
	v_fma_f32 v164, v164, s64, -v53                            // 00000001FD0C: D1CB00A4 84D481A4
	v_fma_f32 v165, v165, s64, -v53                            // 00000001FD14: D1CB00A5 84D481A5
	v_fma_f32 v166, v166, s64, -v53                            // 00000001FD1C: D1CB00A6 84D481A6
	v_fma_f32 v167, v167, s64, -v53                            // 00000001FD24: D1CB00A7 84D481A7
	v_fma_f32 v168, v168, s64, -v53                            // 00000001FD2C: D1CB00A8 84D481A8
	v_fma_f32 v169, v169, s64, -v53                            // 00000001FD34: D1CB00A9 84D481A9
	v_fma_f32 v170, v170, s64, -v53                            // 00000001FD3C: D1CB00AA 84D481AA
	v_fma_f32 v171, v171, s64, -v53                            // 00000001FD44: D1CB00AB 84D481AB
	v_fma_f32 v172, v172, s64, -v53                            // 00000001FD4C: D1CB00AC 84D481AC
	v_fma_f32 v173, v173, s64, -v53                            // 00000001FD54: D1CB00AD 84D481AD
	v_fma_f32 v174, v174, s64, -v53                            // 00000001FD5C: D1CB00AE 84D481AE
	v_fma_f32 v175, v175, s64, -v53                            // 00000001FD64: D1CB00AF 84D481AF
	v_exp_f32_e32 v160, v160                                   // 00000001FD6C: 7F4041A0
	v_exp_f32_e32 v161, v161                                   // 00000001FD70: 7F4241A1
	v_exp_f32_e32 v162, v162                                   // 00000001FD74: 7F4441A2
	v_exp_f32_e32 v163, v163                                   // 00000001FD78: 7F4641A3
	v_exp_f32_e32 v164, v164                                   // 00000001FD7C: 7F4841A4
	v_exp_f32_e32 v165, v165                                   // 00000001FD80: 7F4A41A5
	v_exp_f32_e32 v166, v166                                   // 00000001FD84: 7F4C41A6
	v_exp_f32_e32 v167, v167                                   // 00000001FD88: 7F4E41A7
	v_exp_f32_e32 v168, v168                                   // 00000001FD8C: 7F5041A8
	v_exp_f32_e32 v169, v169                                   // 00000001FD90: 7F5241A9
	v_exp_f32_e32 v170, v170                                   // 00000001FD94: 7F5441AA
	v_exp_f32_e32 v171, v171                                   // 00000001FD98: 7F5641AB
	v_exp_f32_e32 v172, v172                                   // 00000001FD9C: 7F5841AC
	v_exp_f32_e32 v173, v173                                   // 00000001FDA0: 7F5A41AD
	v_exp_f32_e32 v174, v174                                   // 00000001FDA4: 7F5C41AE
	v_exp_f32_e32 v175, v175                                   // 00000001FDA8: 7F5E41AF
	v_mul_f32_dpp v240, v252, v160 quad_perm:[0,0,0,0] row_mask:0xf bank_mask:0xf// 00000001FDAC: 0BE140FA FF0000FC
	v_mul_f32_dpp v241, v252, v161 quad_perm:[1,1,1,1] row_mask:0xf bank_mask:0xf// 00000001FDB4: 0BE342FA FF0055FC
	v_mul_f32_dpp v242, v252, v162 quad_perm:[2,2,2,2] row_mask:0xf bank_mask:0xf// 00000001FDBC: 0BE544FA FF00AAFC
	v_mul_f32_dpp v243, v252, v163 quad_perm:[3,3,3,3] row_mask:0xf bank_mask:0xf// 00000001FDC4: 0BE746FA FF00FFFC
	v_mul_f32_dpp v244, v253, v164 quad_perm:[0,0,0,0] row_mask:0xf bank_mask:0xf// 00000001FDCC: 0BE948FA FF0000FD
	v_mul_f32_dpp v245, v253, v165 quad_perm:[1,1,1,1] row_mask:0xf bank_mask:0xf// 00000001FDD4: 0BEB4AFA FF0055FD
	v_mul_f32_dpp v246, v253, v166 quad_perm:[2,2,2,2] row_mask:0xf bank_mask:0xf// 00000001FDDC: 0BED4CFA FF00AAFD
	v_mul_f32_dpp v247, v253, v167 quad_perm:[3,3,3,3] row_mask:0xf bank_mask:0xf// 00000001FDE4: 0BEF4EFA FF00FFFD
	v_mul_f32_dpp v248, v254, v168 quad_perm:[0,0,0,0] row_mask:0xf bank_mask:0xf// 00000001FDEC: 0BF150FA FF0000FE
	v_mul_f32_dpp v249, v254, v169 quad_perm:[1,1,1,1] row_mask:0xf bank_mask:0xf// 00000001FDF4: 0BF352FA FF0055FE
	v_mul_f32_dpp v250, v254, v170 quad_perm:[2,2,2,2] row_mask:0xf bank_mask:0xf// 00000001FDFC: 0BF554FA FF00AAFE
	v_mul_f32_dpp v251, v254, v171 quad_perm:[3,3,3,3] row_mask:0xf bank_mask:0xf// 00000001FE04: 0BF756FA FF00FFFE
	v_mul_f32_dpp v252, v255, v172 quad_perm:[0,0,0,0] row_mask:0xf bank_mask:0xf// 00000001FE0C: 0BF958FA FF0000FF
	v_mul_f32_dpp v253, v255, v173 quad_perm:[1,1,1,1] row_mask:0xf bank_mask:0xf// 00000001FE14: 0BFB5AFA FF0055FF
	v_mul_f32_dpp v254, v255, v174 quad_perm:[2,2,2,2] row_mask:0xf bank_mask:0xf// 00000001FE1C: 0BFD5CFA FF00AAFF
	v_mul_f32_dpp v255, v255, v175 quad_perm:[3,3,3,3] row_mask:0xf bank_mask:0xf// 00000001FE24: 0BFF5EFA FF00FFFF
	v_mov_b32_e32 v48, 0x358637bd                              // 00000001FE2C: 7E6002FF 358637BD
	v_max3_f32 v48, |v240|, |v241|, v48                        // 00000001FE34: D1D30330 04C3E3F0
	v_max3_f32 v48, |v242|, |v243|, v48                        // 00000001FE3C: D1D30330 04C3E7F2
	v_max3_f32 v48, |v244|, |v245|, v48                        // 00000001FE44: D1D30330 04C3EBF4
	v_max3_f32 v48, |v246|, |v247|, v48                        // 00000001FE4C: D1D30330 04C3EFF6
	v_max3_f32 v48, |v248|, |v249|, v48                        // 00000001FE54: D1D30330 04C3F3F8
	v_max3_f32 v48, |v250|, |v251|, v48                        // 00000001FE5C: D1D30330 04C3F7FA
	v_max3_f32 v48, |v252|, |v253|, v48                        // 00000001FE64: D1D30330 04C3FBFC
	v_max3_f32 v48, |v254|, |v255|, v48                        // 00000001FE6C: D1D30330 04C3FFFE
	ds_write_b32 v8, v48 offset:20992                          // 00000001FE74: D81A5200 00003008
	v_sub_f32_e32 v52, v14, v15                                // 00000001FE7C: 04681F0E
	v_cndmask_b32_e64 v52, v52, 0, s[40:41]                    // 00000001FE80: D1000034 00A10134
	v_mov_b32_e32 v14, v15                                     // 00000001FE88: 7E1C030F
	v_mul_f32_e32 v52, s64, v52                                // 00000001FE8C: 0A686840
	v_exp_f32_e32 v52, v52                                     // 00000001FE90: 7E684134
	s_waitcnt lgkmcnt(0)                                       // 00000001FE94: BF8CC07F
	s_barrier                                                  // 00000001FE98: BF8A0000
	ds_read_b32 v64, v7 offset:20992                           // 00000001FE9C: D86C5200 40000007
	ds_read_b32 v65, v7 offset:21056                           // 00000001FEA4: D86C5240 41000007
	ds_read_b32 v66, v7 offset:21120                           // 00000001FEAC: D86C5280 42000007
	ds_read_b32 v67, v7 offset:21184                           // 00000001FEB4: D86C52C0 43000007
	ds_read_b32 v68, v7 offset:21248                           // 00000001FEBC: D86C5300 44000007
	ds_read_b32 v69, v7 offset:21312                           // 00000001FEC4: D86C5340 45000007
	ds_read_b32 v70, v7 offset:21376                           // 00000001FECC: D86C5380 46000007
	ds_read_b32 v71, v7 offset:21440                           // 00000001FED4: D86C53C0 47000007
	ds_read_b32 v72, v7 offset:21504                           // 00000001FEDC: D86C5400 48000007
	ds_read_b32 v73, v7 offset:21568                           // 00000001FEE4: D86C5440 49000007
	ds_read_b32 v74, v7 offset:21632                           // 00000001FEEC: D86C5480 4A000007
	ds_read_b32 v75, v7 offset:21696                           // 00000001FEF4: D86C54C0 4B000007
	ds_read_b32 v76, v7 offset:21760                           // 00000001FEFC: D86C5500 4C000007
	ds_read_b32 v77, v7 offset:21824                           // 00000001FF04: D86C5540 4D000007
	ds_read_b32 v78, v7 offset:21888                           // 00000001FF0C: D86C5580 4E000007
	ds_read_b32 v79, v7 offset:21952                           // 00000001FF14: D86C55C0 4F000007
	v_mul_f32_e32 v41, v52, v41                                // 00000001FF1C: 0A525334
	v_mov_b32_e32 v15, v160                                    // 00000001FF20: 7E1E03A0
	v_add_f32_e32 v15, v161, v15                               // 00000001FF24: 021E1FA1
	v_add_f32_e32 v15, v162, v15                               // 00000001FF28: 021E1FA2
	v_add_f32_e32 v15, v163, v15                               // 00000001FF2C: 021E1FA3
	v_add_f32_e32 v15, v164, v15                               // 00000001FF30: 021E1FA4
	v_add_f32_e32 v15, v165, v15                               // 00000001FF34: 021E1FA5
	v_add_f32_e32 v15, v166, v15                               // 00000001FF38: 021E1FA6
	v_add_f32_e32 v15, v167, v15                               // 00000001FF3C: 021E1FA7
	v_add_f32_e32 v15, v168, v15                               // 00000001FF40: 021E1FA8
	v_add_f32_e32 v15, v169, v15                               // 00000001FF44: 021E1FA9
	v_add_f32_e32 v15, v170, v15                               // 00000001FF48: 021E1FAA
	v_add_f32_e32 v15, v171, v15                               // 00000001FF4C: 021E1FAB
	v_add_f32_e32 v15, v172, v15                               // 00000001FF50: 021E1FAC
	v_add_f32_e32 v15, v173, v15                               // 00000001FF54: 021E1FAD
	v_add_f32_e32 v15, v174, v15                               // 00000001FF58: 021E1FAE
	v_add_f32_e32 v15, v175, v15                               // 00000001FF5C: 021E1FAF
	v_add_f32_e32 v41, v15, v41                                // 00000001FF60: 0252530F
	s_waitcnt lgkmcnt(0)                                       // 00000001FF64: BF8CC07F
	v_max3_f32 v48, |v64|, |v65|, v48                          // 00000001FF68: D1D30330 04C28340
	v_max3_f32 v48, |v66|, |v67|, v48                          // 00000001FF70: D1D30330 04C28742
	v_max3_f32 v48, |v68|, |v69|, v48                          // 00000001FF78: D1D30330 04C28B44
	v_max3_f32 v48, |v70|, |v71|, v48                          // 00000001FF80: D1D30330 04C28F46
	v_max3_f32 v48, |v72|, |v73|, v48                          // 00000001FF88: D1D30330 04C29348
	v_max3_f32 v48, |v74|, |v75|, v48                          // 00000001FF90: D1D30330 04C2974A
	v_max3_f32 v48, |v76|, |v77|, v48                          // 00000001FF98: D1D30330 04C29B4C
	v_max3_f32 v48, |v78|, |v79|, v48                          // 00000001FFA0: D1D30330 04C29F4E
	s_nop 2                                                    // 00000001FFA8: BF800002
	v_rcp_f32_e32 v48, v48                                     // 00000001FFAC: 7E604530
	s_nop 1                                                    // 00000001FFB0: BF800001
	v_mul_f32_e32 v48, 0x42fe0000, v48                         // 00000001FFB4: 0A6060FF 42FE0000
	v_mul_f32_e32 v160, v48, v240                              // 00000001FFBC: 0B41E130
	v_mul_f32_e32 v161, v48, v241                              // 00000001FFC0: 0B43E330
	v_mul_f32_e32 v162, v48, v242                              // 00000001FFC4: 0B45E530
	v_mul_f32_e32 v163, v48, v243                              // 00000001FFC8: 0B47E730
	v_mul_f32_e32 v164, v48, v244                              // 00000001FFCC: 0B49E930
	v_mul_f32_e32 v165, v48, v245                              // 00000001FFD0: 0B4BEB30
	v_mul_f32_e32 v166, v48, v246                              // 00000001FFD4: 0B4DED30
	v_mul_f32_e32 v167, v48, v247                              // 00000001FFD8: 0B4FEF30
	v_mul_f32_e32 v168, v48, v248                              // 00000001FFDC: 0B51F130
	v_mul_f32_e32 v169, v48, v249                              // 00000001FFE0: 0B53F330
	v_mul_f32_e32 v170, v48, v250                              // 00000001FFE4: 0B55F530
	v_mul_f32_e32 v171, v48, v251                              // 00000001FFE8: 0B57F730
	v_mul_f32_e32 v172, v48, v252                              // 00000001FFEC: 0B59F930
	v_mul_f32_e32 v173, v48, v253                              // 00000001FFF0: 0B5BFB30
	v_mul_f32_e32 v174, v48, v254                              // 00000001FFF4: 0B5DFD30
	v_mul_f32_e32 v175, v48, v255                              // 00000001FFF8: 0B5FFF30
	v_cvt_i32_f32_e32 v160, v160                               // 00000001FFFC: 7F4011A0
	v_cvt_i32_f32_e32 v161, v161                               // 000000020000: 7F4211A1
	v_cvt_i32_f32_e32 v162, v162                               // 000000020004: 7F4411A2
	v_cvt_i32_f32_e32 v163, v163                               // 000000020008: 7F4611A3
	v_cvt_i32_f32_e32 v164, v164                               // 00000002000C: 7F4811A4
	v_cvt_i32_f32_e32 v165, v165                               // 000000020010: 7F4A11A5
	v_cvt_i32_f32_e32 v166, v166                               // 000000020014: 7F4C11A6
	v_cvt_i32_f32_e32 v167, v167                               // 000000020018: 7F4E11A7
	v_cvt_i32_f32_e32 v168, v168                               // 00000002001C: 7F5011A8
	v_cvt_i32_f32_e32 v169, v169                               // 000000020020: 7F5211A9
	v_cvt_i32_f32_e32 v170, v170                               // 000000020024: 7F5411AA
	v_cvt_i32_f32_e32 v171, v171                               // 000000020028: 7F5611AB
	v_cvt_i32_f32_e32 v172, v172                               // 00000002002C: 7F5811AC
	v_cvt_i32_f32_e32 v173, v173                               // 000000020030: 7F5A11AD
	v_cvt_i32_f32_e32 v174, v174                               // 000000020034: 7F5C11AE
	v_cvt_i32_f32_e32 v175, v175                               // 000000020038: 7F5E11AF
	v_perm_b32 v160, v161, v160, s53                           // 00000002003C: D1ED00A0 00D741A1
	v_perm_b32 v160, v162, v160, s54                           // 000000020044: D1ED00A0 00DB41A2
	v_perm_b32 v160, v163, v160, s55                           // 00000002004C: D1ED00A0 00DF41A3
	v_perm_b32 v161, v165, v164, s53                           // 000000020054: D1ED00A1 00D749A5
	v_perm_b32 v161, v166, v161, s54                           // 00000002005C: D1ED00A1 00DB43A6
	v_perm_b32 v161, v167, v161, s55                           // 000000020064: D1ED00A1 00DF43A7
	v_perm_b32 v162, v169, v168, s53                           // 00000002006C: D1ED00A2 00D751A9
	v_perm_b32 v162, v170, v162, s54                           // 000000020074: D1ED00A2 00DB45AA
	v_perm_b32 v162, v171, v162, s55                           // 00000002007C: D1ED00A2 00DF45AB
	v_perm_b32 v163, v173, v172, s53                           // 000000020084: D1ED00A3 00D759AD
	v_perm_b32 v163, v174, v163, s54                           // 00000002008C: D1ED00A3 00DB47AE
	v_perm_b32 v163, v175, v163, s55                           // 000000020094: D1ED00A3 00DF47AF
	ds_write_b32 v10, v160 offset:37376                        // 00000002009C: D81A9200 0000A00A
	ds_write_b32 v10, v161 offset:38400                        // 0000000200A4: D81A9600 0000A10A
	ds_write_b32 v10, v162 offset:39424                        // 0000000200AC: D81A9A00 0000A20A
	ds_write_b32 v10, v163 offset:40448                        // 0000000200B4: D81A9E00 0000A30A
	v_add_f32_e32 v232, v232, v200                             // 0000000200BC: 03D191E8
	v_add_f32_e32 v233, v233, v201                             // 0000000200C0: 03D393E9
	v_add_f32_e32 v234, v234, v202                             // 0000000200C4: 03D595EA
	v_add_f32_e32 v235, v235, v203                             // 0000000200C8: 03D797EB
	v_add_f32_e32 v236, v236, v204                             // 0000000200CC: 03D999EC
	v_add_f32_e32 v237, v237, v205                             // 0000000200D0: 03DB9BED
	v_add_f32_e32 v238, v238, v206                             // 0000000200D4: 03DD9DEE
	v_add_f32_e32 v239, v239, v207                             // 0000000200D8: 03DF9FEF
	v_rcp_f32_e32 v47, v48                                     // 0000000200DC: 7E5E4530
	s_waitcnt lgkmcnt(0)                                       // 0000000200E0: BF8CC07F
	s_barrier                                                  // 0000000200E4: BF8A0000
	ds_read_b64 v[160:161], v9 offset:37376                    // 0000000200E8: D8EC9200 A0000009
	ds_read_b64 v[162:163], v9 offset:37504                    // 0000000200F0: D8EC9280 A2000009
	ds_read_b64 v[164:165], v9 offset:38400                    // 0000000200F8: D8EC9600 A4000009
	ds_read_b64 v[166:167], v9 offset:38528                    // 000000020100: D8EC9680 A6000009
	ds_read_b64 v[168:169], v9 offset:39424                    // 000000020108: D8EC9A00 A8000009
	ds_read_b64 v[170:171], v9 offset:39552                    // 000000020110: D8EC9A80 AA000009
	ds_read_b64 v[172:173], v9 offset:40448                    // 000000020118: D8EC9E00 AC000009
	ds_read_b64 v[174:175], v9 offset:40576                    // 000000020120: D8EC9E80 AE000009
	s_waitcnt vmcnt(15)                                        // 000000020128: BF8C0F7F
	v_mfma_i32_16x16x32_i8 v[176:179], a[96:97], v[112:113], 0 // 00000002012C: D3D700B0 0A02E160
	v_mfma_i32_16x16x32_i8 v[176:179], a[98:99], v[114:115], v[176:179]// 000000020134: D3D700B0 0EC2E562
	buffer_load_dwordx4 a[80:83], v30, s[20:23], 0 offen offset:1024// 00000002013C: E05C1400 8085501E
	v_mfma_i32_16x16x32_i8 v[176:179], a[100:101], v[116:117], v[176:179]// 000000020144: D3D700B0 0EC2E964
	v_mfma_i32_16x16x32_i8 v[176:179], a[102:103], v[118:119], v[176:179]// 00000002014C: D3D700B0 0EC2ED66
	v_mfma_i32_16x16x32_i8 v[176:179], a[104:105], v[120:121], v[176:179]// 000000020154: D3D700B0 0EC2F168
	v_mfma_i32_16x16x32_i8 v[176:179], a[106:107], v[122:123], v[176:179]// 00000002015C: D3D700B0 0EC2F56A
	buffer_load_dwordx4 a[84:87], v31, s[20:23], 0 offen offset:1024// 000000020164: E05C1400 8085541F
	v_mfma_i32_16x16x32_i8 v[176:179], a[108:109], v[124:125], v[176:179]// 00000002016C: D3D700B0 0EC2F96C
	v_mfma_i32_16x16x32_i8 v[176:179], a[110:111], v[126:127], v[176:179]// 000000020174: D3D700B0 0EC2FD6E
	v_mfma_i32_16x16x32_i8 v[180:183], a[112:113], v[112:113], 0// 00000002017C: D3D700B4 0A02E170
	v_mfma_i32_16x16x32_i8 v[180:183], a[114:115], v[114:115], v[180:183]// 000000020184: D3D700B4 0ED2E572
	buffer_load_dwordx4 a[88:91], v32, s[20:23], 0 offen offset:1024// 00000002018C: E05C1400 80855820
	v_mfma_i32_16x16x32_i8 v[180:183], a[116:117], v[116:117], v[180:183]// 000000020194: D3D700B4 0ED2E974
	v_mfma_i32_16x16x32_i8 v[180:183], a[118:119], v[118:119], v[180:183]// 00000002019C: D3D700B4 0ED2ED76
	v_mfma_i32_16x16x32_i8 v[180:183], a[120:121], v[120:121], v[180:183]// 0000000201A4: D3D700B4 0ED2F178
	v_mfma_i32_16x16x32_i8 v[180:183], a[122:123], v[122:123], v[180:183]// 0000000201AC: D3D700B4 0ED2F57A
	buffer_load_dwordx4 a[92:95], v33, s[20:23], 0 offen offset:1024// 0000000201B4: E05C1400 80855C21
	v_mfma_i32_16x16x32_i8 v[180:183], a[124:125], v[124:125], v[180:183]// 0000000201BC: D3D700B4 0ED2F97C
	s_lshr_b32 s57, s70, 4                                     // 0000000201C4: 8F398446
	s_add_u32 s57, 48, s57                                     // 0000000201C8: 803939B0
	v_mfma_i32_16x16x32_i8 v[180:183], a[126:127], v[126:127], v[180:183]// 0000000201CC: D3D700B4 0ED2FD7E
	s_cmp_ge_u32 s57, s73                                      // 0000000201D4: BF094939
	s_cselect_b32 s56, 0, s56                                  // 0000000201D8: 85383880
	v_mfma_i32_16x16x32_i8 v[184:187], a[96:97], v[128:129], 0 // 0000000201DC: D3D700B8 0A030160
	v_mfma_i32_16x16x32_i8 v[184:187], a[98:99], v[130:131], v[184:187]// 0000000201E4: D3D700B8 0EE30562
	v_mfma_i32_16x16x32_i8 v[184:187], a[100:101], v[132:133], v[184:187]// 0000000201EC: D3D700B8 0EE30964
	v_mfma_i32_16x16x32_i8 v[184:187], a[102:103], v[134:135], v[184:187]// 0000000201F4: D3D700B8 0EE30D66
	v_mfma_i32_16x16x32_i8 v[184:187], a[104:105], v[136:137], v[184:187]// 0000000201FC: D3D700B8 0EE31168
	v_mfma_i32_16x16x32_i8 v[184:187], a[106:107], v[138:139], v[184:187]// 000000020204: D3D700B8 0EE3156A
	v_mfma_i32_16x16x32_i8 v[184:187], a[108:109], v[140:141], v[184:187]// 00000002020C: D3D700B8 0EE3196C
	v_mfma_i32_16x16x32_i8 v[184:187], a[110:111], v[142:143], v[184:187]// 000000020214: D3D700B8 0EE31D6E
	v_mfma_i32_16x16x32_i8 v[188:191], a[112:113], v[128:129], 0// 00000002021C: D3D700BC 0A030170
	v_mfma_i32_16x16x32_i8 v[188:191], a[114:115], v[130:131], v[188:191]// 000000020224: D3D700BC 0EF30572
	v_mfma_i32_16x16x32_i8 v[188:191], a[116:117], v[132:133], v[188:191]// 00000002022C: D3D700BC 0EF30974
	v_mfma_i32_16x16x32_i8 v[188:191], a[118:119], v[134:135], v[188:191]// 000000020234: D3D700BC 0EF30D76
	v_mfma_i32_16x16x32_i8 v[188:191], a[120:121], v[136:137], v[188:191]// 00000002023C: D3D700BC 0EF31178
	v_mfma_i32_16x16x32_i8 v[188:191], a[122:123], v[138:139], v[188:191]// 000000020244: D3D700BC 0EF3157A
	v_mfma_i32_16x16x32_i8 v[188:191], a[124:125], v[140:141], v[188:191]// 00000002024C: D3D700BC 0EF3197C
	v_mfma_i32_16x16x32_i8 v[188:191], a[126:127], v[142:143], v[188:191]// 000000020254: D3D700BC 0EF31D7E
	v_mfma_i32_16x16x32_i8 v[192:195], a[96:97], v[144:145], 0 // 00000002025C: D3D700C0 0A032160
	v_mfma_i32_16x16x32_i8 v[192:195], a[98:99], v[146:147], v[192:195]// 000000020264: D3D700C0 0F032562
	v_mfma_i32_16x16x32_i8 v[192:195], a[100:101], v[148:149], v[192:195]// 00000002026C: D3D700C0 0F032964
	v_mfma_i32_16x16x32_i8 v[192:195], a[102:103], v[150:151], v[192:195]// 000000020274: D3D700C0 0F032D66
	v_mfma_i32_16x16x32_i8 v[192:195], a[104:105], v[152:153], v[192:195]// 00000002027C: D3D700C0 0F033168
	v_mfma_i32_16x16x32_i8 v[192:195], a[106:107], v[154:155], v[192:195]// 000000020284: D3D700C0 0F03356A
	v_mfma_i32_16x16x32_i8 v[192:195], a[108:109], v[156:157], v[192:195]// 00000002028C: D3D700C0 0F03396C
	v_mfma_i32_16x16x32_i8 v[192:195], a[110:111], v[158:159], v[192:195]// 000000020294: D3D700C0 0F033D6E
	v_mfma_i32_16x16x32_i8 v[196:199], a[112:113], v[144:145], 0// 00000002029C: D3D700C4 0A032170
	v_mfma_i32_16x16x32_i8 v[196:199], a[114:115], v[146:147], v[196:199]// 0000000202A4: D3D700C4 0F132572
	v_mfma_i32_16x16x32_i8 v[196:199], a[116:117], v[148:149], v[196:199]// 0000000202AC: D3D700C4 0F132974
	v_mfma_i32_16x16x32_i8 v[196:199], a[118:119], v[150:151], v[196:199]// 0000000202B4: D3D700C4 0F132D76
	v_mfma_i32_16x16x32_i8 v[196:199], a[120:121], v[152:153], v[196:199]// 0000000202BC: D3D700C4 0F133178
	v_mfma_i32_16x16x32_i8 v[196:199], a[122:123], v[154:155], v[196:199]// 0000000202C4: D3D700C4 0F13357A
	v_mfma_i32_16x16x32_i8 v[196:199], a[124:125], v[156:157], v[196:199]// 0000000202CC: D3D700C4 0F13397C
	v_mfma_i32_16x16x32_i8 v[196:199], a[126:127], v[158:159], v[196:199]// 0000000202D4: D3D700C4 0F133D7E
	v_mfma_i32_16x16x32_i8 v[200:203], a[96:97], v[160:161], 0 // 0000000202DC: D3D700C8 0A034160
	v_mfma_i32_16x16x32_i8 v[200:203], a[98:99], v[162:163], v[200:203]// 0000000202E4: D3D700C8 0F234562
	v_mfma_i32_16x16x32_i8 v[200:203], a[100:101], v[164:165], v[200:203]// 0000000202EC: D3D700C8 0F234964
	v_mfma_i32_16x16x32_i8 v[200:203], a[102:103], v[166:167], v[200:203]// 0000000202F4: D3D700C8 0F234D66
	v_mfma_i32_16x16x32_i8 v[200:203], a[104:105], v[168:169], v[200:203]// 0000000202FC: D3D700C8 0F235168
	v_mfma_i32_16x16x32_i8 v[200:203], a[106:107], v[170:171], v[200:203]// 000000020304: D3D700C8 0F23556A
	v_mfma_i32_16x16x32_i8 v[200:203], a[108:109], v[172:173], v[200:203]// 00000002030C: D3D700C8 0F23596C
	v_mfma_i32_16x16x32_i8 v[200:203], a[110:111], v[174:175], v[200:203]// 000000020314: D3D700C8 0F235D6E
	v_mfma_i32_16x16x32_i8 v[204:207], a[112:113], v[160:161], 0// 00000002031C: D3D700CC 0A034170
	v_mfma_i32_16x16x32_i8 v[204:207], a[114:115], v[162:163], v[204:207]// 000000020324: D3D700CC 0F334572
	v_mfma_i32_16x16x32_i8 v[204:207], a[116:117], v[164:165], v[204:207]// 00000002032C: D3D700CC 0F334974
	v_mfma_i32_16x16x32_i8 v[204:207], a[118:119], v[166:167], v[204:207]// 000000020334: D3D700CC 0F334D76
	v_mfma_i32_16x16x32_i8 v[204:207], a[120:121], v[168:169], v[204:207]// 00000002033C: D3D700CC 0F335178
	v_mfma_i32_16x16x32_i8 v[204:207], a[122:123], v[170:171], v[204:207]// 000000020344: D3D700CC 0F33557A
	v_mfma_i32_16x16x32_i8 v[204:207], a[124:125], v[172:173], v[204:207]// 00000002034C: D3D700CC 0F33597C
	v_mfma_i32_16x16x32_i8 v[204:207], a[126:127], v[174:175], v[204:207]// 000000020354: D3D700CC 0F335D7E
	v_add_u32_e32 v1, s56, v1                                  // 00000002035C: 68020238
	s_addk_i32 s70, 0x100                                      // 000000020360: B7460100
	s_cmp_lt_i32 s70, s71                                      // 000000020364: BF044746
	s_cbranch_scc0 label_785C                                  // 000000020368: BF840001
	s_branch label_667F                                        // 00000002036C: BF82EE23

0000000000020370 <label_785C>:
	s_nop 0                                                    // 000000020370: BF800000
	s_nop 0                                                    // 000000020374: BF800000
	s_branch label_8A3C                                        // 000000020378: BF8211DD

000000000002037c <label_785F>:
	s_waitcnt vmcnt(8) lgkmcnt(0)                              // 00000002037C: BF8C0078
	v_mul_u32_u24_dpp v64, v17, v54 row_newbcast:0 row_mask:0xf bank_mask:0xf// 000000020380: 10806CFA FF015011
	v_mul_u32_u24_dpp v65, v17, v54 row_newbcast:4 row_mask:0xf bank_mask:0xf// 000000020388: 10826CFA FF015411
	v_mul_u32_u24_dpp v66, v17, v54 row_newbcast:8 row_mask:0xf bank_mask:0xf// 000000020390: 10846CFA FF015811
	v_mul_u32_u24_dpp v67, v17, v54 row_newbcast:12 row_mask:0xf bank_mask:0xf// 000000020398: 10866CFA FF015C11
	v_add_u32_e32 v26, v64, v5                                 // 0000000203A0: 68340B40
	v_add_u32_e32 v27, v65, v5                                 // 0000000203A4: 68360B41
	v_add_u32_e32 v28, v66, v5                                 // 0000000203A8: 68380B42
	v_add_u32_e32 v29, v67, v5                                 // 0000000203AC: 683A0B43
	v_mul_u32_u24_dpp v64, v17, v63 quad_perm:[0,0,0,0] row_mask:0xf bank_mask:0xf// 0000000203B0: 10807EFA FF000011
	v_add_u32_e32 v3, v64, v59                                 // 0000000203B8: 68067740
	v_mul_u32_u24_dpp v64, v17, v63 quad_perm:[0,0,0,0] row_mask:0xf bank_mask:0xf// 0000000203BC: 10807EFA FF000011
	v_add_u32_e32 v56, v64, v60                                // 0000000203C4: 68707940
	v_mfma_i32_16x16x32_i8 v[112:115], a[0:1], v[80:81], 0     // 0000000203C8: D3D70070 0A02A100
	buffer_load_dwordx4 a[32:35], v26, s[16:19], 0 offen       // 0000000203D0: E05C1000 8084201A
	v_mfma_i32_16x16x32_i8 v[112:115], a[2:3], v[82:83], v[112:115]// 0000000203D8: D3D70070 0DC2A502
	v_mfma_i32_16x16x32_i8 v[112:115], a[4:5], v[84:85], v[112:115]// 0000000203E0: D3D70070 0DC2A904
	buffer_load_dword v16, v1, s[24:27], 0 offen               // 0000000203E8: E0501000 80061001
	v_mfma_i32_16x16x32_i8 v[112:115], a[6:7], v[86:87], v[112:115]// 0000000203F0: D3D70070 0DC2AD06
	v_mfma_i32_16x16x32_i8 v[116:119], a[8:9], v[80:81], 0     // 0000000203F8: D3D70074 0A02A108
	buffer_load_dwordx4 a[36:39], v26, s[16:19], 0 offen offset:1024// 000000020400: E05C1400 8084241A
	v_mfma_i32_16x16x32_i8 v[116:119], a[10:11], v[82:83], v[116:119]// 000000020408: D3D70074 0DD2A50A
	v_mfma_i32_16x16x32_i8 v[116:119], a[12:13], v[84:85], v[116:119]// 000000020410: D3D70074 0DD2A90C
	v_mfma_i32_16x16x32_i8 v[116:119], a[14:15], v[86:87], v[116:119]// 000000020418: D3D70074 0DD2AD0E
	v_mfma_i32_16x16x32_i8 v[120:123], a[16:17], v[80:81], 0   // 000000020420: D3D70078 0A02A110
	buffer_load_dwordx4 a[40:43], v27, s[16:19], 0 offen       // 000000020428: E05C1000 8084281B
	v_mfma_i32_16x16x32_i8 v[120:123], a[18:19], v[82:83], v[120:123]// 000000020430: D3D70078 0DE2A512
	v_mfma_i32_16x16x32_i8 v[120:123], a[20:21], v[84:85], v[120:123]// 000000020438: D3D70078 0DE2A914
	v_mfma_i32_16x16x32_i8 v[120:123], a[22:23], v[86:87], v[120:123]// 000000020440: D3D70078 0DE2AD16
	v_mfma_i32_16x16x32_i8 v[124:127], a[24:25], v[80:81], 0   // 000000020448: D3D7007C 0A02A118
	buffer_load_dwordx4 a[44:47], v27, s[16:19], 0 offen offset:1024// 000000020450: E05C1400 80842C1B
	v_mfma_i32_16x16x32_i8 v[124:127], a[26:27], v[82:83], v[124:127]// 000000020458: D3D7007C 0DF2A51A
	v_mfma_i32_16x16x32_i8 v[124:127], a[28:29], v[84:85], v[124:127]// 000000020460: D3D7007C 0DF2A91C
	v_mfma_i32_16x16x32_i8 v[124:127], a[30:31], v[86:87], v[124:127]// 000000020468: D3D7007C 0DF2AD1E
	v_mfma_i32_16x16x32_i8 v[128:131], a[0:1], v[88:89], 0     // 000000020470: D3D70080 0A02B100
	v_mfma_i32_16x16x32_i8 v[128:131], a[2:3], v[90:91], v[128:131]// 000000020478: D3D70080 0E02B502
	v_mfma_i32_16x16x32_i8 v[128:131], a[4:5], v[92:93], v[128:131]// 000000020480: D3D70080 0E02B904
	v_mfma_i32_16x16x32_i8 v[128:131], a[6:7], v[94:95], v[128:131]// 000000020488: D3D70080 0E02BD06
	v_mfma_i32_16x16x32_i8 v[132:135], a[8:9], v[88:89], 0     // 000000020490: D3D70084 0A02B108
	v_mfma_i32_16x16x32_i8 v[132:135], a[10:11], v[90:91], v[132:135]// 000000020498: D3D70084 0E12B50A
	v_mfma_i32_16x16x32_i8 v[132:135], a[12:13], v[92:93], v[132:135]// 0000000204A0: D3D70084 0E12B90C
	v_mfma_i32_16x16x32_i8 v[132:135], a[14:15], v[94:95], v[132:135]// 0000000204A8: D3D70084 0E12BD0E
	v_mfma_i32_16x16x32_i8 v[136:139], a[16:17], v[88:89], 0   // 0000000204B0: D3D70088 0A02B110
	v_mfma_i32_16x16x32_i8 v[136:139], a[18:19], v[90:91], v[136:139]// 0000000204B8: D3D70088 0E22B512
	v_mfma_i32_16x16x32_i8 v[136:139], a[20:21], v[92:93], v[136:139]// 0000000204C0: D3D70088 0E22B914
	v_mfma_i32_16x16x32_i8 v[136:139], a[22:23], v[94:95], v[136:139]// 0000000204C8: D3D70088 0E22BD16
	v_mfma_i32_16x16x32_i8 v[140:143], a[24:25], v[88:89], 0   // 0000000204D0: D3D7008C 0A02B118
	v_mfma_i32_16x16x32_i8 v[140:143], a[26:27], v[90:91], v[140:143]// 0000000204D8: D3D7008C 0E32B51A
	v_mfma_i32_16x16x32_i8 v[140:143], a[28:29], v[92:93], v[140:143]// 0000000204E0: D3D7008C 0E32B91C
	v_mfma_i32_16x16x32_i8 v[140:143], a[30:31], v[94:95], v[140:143]// 0000000204E8: D3D7008C 0E32BD1E
	v_mfma_i32_16x16x32_i8 v[144:147], a[0:1], v[96:97], 0     // 0000000204F0: D3D70090 0A02C100
	v_mfma_i32_16x16x32_i8 v[144:147], a[2:3], v[98:99], v[144:147]// 0000000204F8: D3D70090 0E42C502
	v_mfma_i32_16x16x32_i8 v[144:147], a[4:5], v[100:101], v[144:147]// 000000020500: D3D70090 0E42C904
	v_mfma_i32_16x16x32_i8 v[144:147], a[6:7], v[102:103], v[144:147]// 000000020508: D3D70090 0E42CD06
	v_mfma_i32_16x16x32_i8 v[148:151], a[8:9], v[96:97], 0     // 000000020510: D3D70094 0A02C108
	v_mfma_i32_16x16x32_i8 v[148:151], a[10:11], v[98:99], v[148:151]// 000000020518: D3D70094 0E52C50A
	v_mfma_i32_16x16x32_i8 v[148:151], a[12:13], v[100:101], v[148:151]// 000000020520: D3D70094 0E52C90C
	v_mfma_i32_16x16x32_i8 v[148:151], a[14:15], v[102:103], v[148:151]// 000000020528: D3D70094 0E52CD0E
	v_mfma_i32_16x16x32_i8 v[152:155], a[16:17], v[96:97], 0   // 000000020530: D3D70098 0A02C110
	v_mfma_i32_16x16x32_i8 v[152:155], a[18:19], v[98:99], v[152:155]// 000000020538: D3D70098 0E62C512
	v_mfma_i32_16x16x32_i8 v[152:155], a[20:21], v[100:101], v[152:155]// 000000020540: D3D70098 0E62C914
	v_mfma_i32_16x16x32_i8 v[152:155], a[22:23], v[102:103], v[152:155]// 000000020548: D3D70098 0E62CD16
	v_mfma_i32_16x16x32_i8 v[156:159], a[24:25], v[96:97], 0   // 000000020550: D3D7009C 0A02C118
	v_mfma_i32_16x16x32_i8 v[156:159], a[26:27], v[98:99], v[156:159]// 000000020558: D3D7009C 0E72C51A
	v_mfma_i32_16x16x32_i8 v[156:159], a[28:29], v[100:101], v[156:159]// 000000020560: D3D7009C 0E72C91C
	v_mfma_i32_16x16x32_i8 v[156:159], a[30:31], v[102:103], v[156:159]// 000000020568: D3D7009C 0E72CD1E
	v_mfma_i32_16x16x32_i8 v[160:163], a[0:1], v[104:105], 0   // 000000020570: D3D700A0 0A02D100
	v_mfma_i32_16x16x32_i8 v[160:163], a[2:3], v[106:107], v[160:163]// 000000020578: D3D700A0 0E82D502
	v_mfma_i32_16x16x32_i8 v[160:163], a[4:5], v[108:109], v[160:163]// 000000020580: D3D700A0 0E82D904
	v_mfma_i32_16x16x32_i8 v[160:163], a[6:7], v[110:111], v[160:163]// 000000020588: D3D700A0 0E82DD06
	v_mfma_i32_16x16x32_i8 v[164:167], a[8:9], v[104:105], 0   // 000000020590: D3D700A4 0A02D108
	v_mfma_i32_16x16x32_i8 v[164:167], a[10:11], v[106:107], v[164:167]// 000000020598: D3D700A4 0E92D50A
	v_mfma_i32_16x16x32_i8 v[164:167], a[12:13], v[108:109], v[164:167]// 0000000205A0: D3D700A4 0E92D90C
	v_mfma_i32_16x16x32_i8 v[164:167], a[14:15], v[110:111], v[164:167]// 0000000205A8: D3D700A4 0E92DD0E
	v_mfma_i32_16x16x32_i8 v[168:171], a[16:17], v[104:105], 0 // 0000000205B0: D3D700A8 0A02D110
	v_mfma_i32_16x16x32_i8 v[168:171], a[18:19], v[106:107], v[168:171]// 0000000205B8: D3D700A8 0EA2D512
	v_mfma_i32_16x16x32_i8 v[168:171], a[20:21], v[108:109], v[168:171]// 0000000205C0: D3D700A8 0EA2D914
	v_mfma_i32_16x16x32_i8 v[168:171], a[22:23], v[110:111], v[168:171]// 0000000205C8: D3D700A8 0EA2DD16
	v_mfma_i32_16x16x32_i8 v[172:175], a[24:25], v[104:105], 0 // 0000000205D0: D3D700AC 0A02D118
	v_mfma_i32_16x16x32_i8 v[172:175], a[26:27], v[106:107], v[172:175]// 0000000205D8: D3D700AC 0EB2D51A
	v_mfma_i32_16x16x32_i8 v[172:175], a[28:29], v[108:109], v[172:175]// 0000000205E0: D3D700AC 0EB2D91C
	v_mfma_i32_16x16x32_i8 v[172:175], a[30:31], v[110:111], v[172:175]// 0000000205E8: D3D700AC 0EB2DD1E
	buffer_load_dword v43, v3, s[32:35], 0 offen               // 0000000205F0: E0501000 80082B03
	v_mov_b32_dpp v64, v42 row_shr:4 row_mask:0xf bank_mask:0xf// 0000000205F8: 7E8002FA FF01142A
	v_mov_b32_dpp v65, v42 row_shl:4 row_mask:0xf bank_mask:0xf// 000000020600: 7E8202FA FF01042A
	v_cndmask_b32_e64 v248, v42, v64, s[44:45]                 // 000000020608: D10000F8 00B2812A
	v_cndmask_b32_e64 v249, v65, v42, s[44:45]                 // 000000020610: D10000F9 00B25541
	v_mov_b32_dpp v64, v248 row_shr:8 row_mask:0xf bank_mask:0xf// 000000020618: 7E8002FA FF0118F8
	v_mov_b32_dpp v65, v248 row_shl:8 row_mask:0xf bank_mask:0xf// 000000020620: 7E8202FA FF0108F8
	v_mov_b32_dpp v66, v249 row_shr:8 row_mask:0xf bank_mask:0xf// 000000020628: 7E8402FA FF0118F9
	v_mov_b32_dpp v67, v249 row_shl:8 row_mask:0xf bank_mask:0xf// 000000020630: 7E8602FA FF0108F9
	v_mov_b32_e32 v68, v248                                    // 000000020638: 7E8803F8
	v_mov_b32_e32 v69, v249                                    // 00000002063C: 7E8A03F9
	v_cndmask_b32_e64 v248, v68, v64, s[42:43]                 // 000000020640: D10000F8 00AA8144
	v_cndmask_b32_e64 v250, v68, v65, s[78:79]                 // 000000020648: D10000FA 013A8344
	v_cndmask_b32_e64 v249, v69, v66, s[42:43]                 // 000000020650: D10000F9 00AA8545
	v_cndmask_b32_e64 v251, v69, v67, s[78:79]                 // 000000020658: D10000FB 013A8745
	v_mov_b32_dpp v64, v57 row_shr:4 row_mask:0xf bank_mask:0xf// 000000020660: 7E8002FA FF011439
	v_mov_b32_dpp v65, v57 row_shl:4 row_mask:0xf bank_mask:0xf// 000000020668: 7E8202FA FF010439
	v_cndmask_b32_e64 v252, v57, v64, s[44:45]                 // 000000020670: D10000FC 00B28139
	v_cndmask_b32_e64 v253, v65, v57, s[44:45]                 // 000000020678: D10000FD 00B27341
	v_mov_b32_dpp v64, v252 row_shr:8 row_mask:0xf bank_mask:0xf// 000000020680: 7E8002FA FF0118FC
	v_mov_b32_dpp v65, v252 row_shl:8 row_mask:0xf bank_mask:0xf// 000000020688: 7E8202FA FF0108FC
	v_mov_b32_dpp v66, v253 row_shr:8 row_mask:0xf bank_mask:0xf// 000000020690: 7E8402FA FF0118FD
	v_mov_b32_dpp v67, v253 row_shl:8 row_mask:0xf bank_mask:0xf// 000000020698: 7E8602FA FF0108FD
	v_mov_b32_e32 v68, v252                                    // 0000000206A0: 7E8803FC
	v_mov_b32_e32 v69, v253                                    // 0000000206A4: 7E8A03FD
	v_cndmask_b32_e64 v252, v68, v64, s[42:43]                 // 0000000206A8: D10000FC 00AA8144
	v_cndmask_b32_e64 v254, v68, v65, s[78:79]                 // 0000000206B0: D10000FE 013A8344
	v_cndmask_b32_e64 v253, v69, v66, s[42:43]                 // 0000000206B8: D10000FD 00AA8545
	v_cndmask_b32_e64 v255, v69, v67, s[78:79]                 // 0000000206C0: D10000FF 013A8745
	buffer_load_dword v58, v56, s[36:39], 0 offen              // 0000000206C8: E0501000 80093A38
	v_cvt_f32_i32_e32 v112, v112                               // 0000000206D0: 7EE00B70
	v_cvt_f32_i32_e32 v113, v113                               // 0000000206D4: 7EE20B71
	v_cvt_f32_i32_e32 v114, v114                               // 0000000206D8: 7EE40B72
	v_cvt_f32_i32_e32 v115, v115                               // 0000000206DC: 7EE60B73
	v_cvt_f32_i32_e32 v116, v116                               // 0000000206E0: 7EE80B74
	v_cvt_f32_i32_e32 v117, v117                               // 0000000206E4: 7EEA0B75
	v_cvt_f32_i32_e32 v118, v118                               // 0000000206E8: 7EEC0B76
	v_cvt_f32_i32_e32 v119, v119                               // 0000000206EC: 7EEE0B77
	v_cvt_f32_i32_e32 v120, v120                               // 0000000206F0: 7EF00B78
	v_cvt_f32_i32_e32 v121, v121                               // 0000000206F4: 7EF20B79
	v_cvt_f32_i32_e32 v122, v122                               // 0000000206F8: 7EF40B7A
	v_cvt_f32_i32_e32 v123, v123                               // 0000000206FC: 7EF60B7B
	v_cvt_f32_i32_e32 v124, v124                               // 000000020700: 7EF80B7C
	v_cvt_f32_i32_e32 v125, v125                               // 000000020704: 7EFA0B7D
	v_cvt_f32_i32_e32 v126, v126                               // 000000020708: 7EFC0B7E
	v_cvt_f32_i32_e32 v127, v127                               // 00000002070C: 7EFE0B7F
	v_mul_f32_e32 v112, v18, v112                              // 000000020710: 0AE0E112
	v_mul_f32_e32 v113, v18, v113                              // 000000020714: 0AE2E312
	v_mul_f32_e32 v114, v18, v114                              // 000000020718: 0AE4E512
	v_mul_f32_e32 v115, v18, v115                              // 00000002071C: 0AE6E712
	v_mul_f32_e32 v116, v18, v116                              // 000000020720: 0AE8E912
	v_mul_f32_e32 v117, v18, v117                              // 000000020724: 0AEAEB12
	v_mul_f32_e32 v118, v18, v118                              // 000000020728: 0AECED12
	v_mul_f32_e32 v119, v18, v119                              // 00000002072C: 0AEEEF12
	v_mul_f32_e32 v120, v18, v120                              // 000000020730: 0AF0F112
	v_mul_f32_e32 v121, v18, v121                              // 000000020734: 0AF2F312
	v_mul_f32_e32 v122, v18, v122                              // 000000020738: 0AF4F512
	v_mul_f32_e32 v123, v18, v123                              // 00000002073C: 0AF6F712
	v_mul_f32_e32 v124, v18, v124                              // 000000020740: 0AF8F912
	v_mul_f32_e32 v125, v18, v125                              // 000000020744: 0AFAFB12
	v_mul_f32_e32 v126, v18, v126                              // 000000020748: 0AFCFD12
	v_mul_f32_e32 v127, v18, v127                              // 00000002074C: 0AFEFF12
	buffer_load_dwordx4 a[48:51], v28, s[16:19], 0 offen       // 000000020750: E05C1000 8084301C
	v_mul_f32_dpp v112, v248, v112 quad_perm:[0,0,0,0] row_mask:0xf bank_mask:0xf// 000000020758: 0AE0E0FA FF0000F8
	v_mul_f32_dpp v113, v248, v113 quad_perm:[1,1,1,1] row_mask:0xf bank_mask:0xf// 000000020760: 0AE2E2FA FF0055F8
	v_mul_f32_dpp v114, v248, v114 quad_perm:[2,2,2,2] row_mask:0xf bank_mask:0xf// 000000020768: 0AE4E4FA FF00AAF8
	v_mul_f32_dpp v115, v248, v115 quad_perm:[3,3,3,3] row_mask:0xf bank_mask:0xf// 000000020770: 0AE6E6FA FF00FFF8
	v_mul_f32_dpp v116, v249, v116 quad_perm:[0,0,0,0] row_mask:0xf bank_mask:0xf// 000000020778: 0AE8E8FA FF0000F9
	v_mul_f32_dpp v117, v249, v117 quad_perm:[1,1,1,1] row_mask:0xf bank_mask:0xf// 000000020780: 0AEAEAFA FF0055F9
	v_mul_f32_dpp v118, v249, v118 quad_perm:[2,2,2,2] row_mask:0xf bank_mask:0xf// 000000020788: 0AECECFA FF00AAF9
	v_mul_f32_dpp v119, v249, v119 quad_perm:[3,3,3,3] row_mask:0xf bank_mask:0xf// 000000020790: 0AEEEEFA FF00FFF9
	v_mul_f32_dpp v120, v250, v120 quad_perm:[0,0,0,0] row_mask:0xf bank_mask:0xf// 000000020798: 0AF0F0FA FF0000FA
	v_mul_f32_dpp v121, v250, v121 quad_perm:[1,1,1,1] row_mask:0xf bank_mask:0xf// 0000000207A0: 0AF2F2FA FF0055FA
	v_mul_f32_dpp v122, v250, v122 quad_perm:[2,2,2,2] row_mask:0xf bank_mask:0xf// 0000000207A8: 0AF4F4FA FF00AAFA
	v_mul_f32_dpp v123, v250, v123 quad_perm:[3,3,3,3] row_mask:0xf bank_mask:0xf// 0000000207B0: 0AF6F6FA FF00FFFA
	v_mul_f32_dpp v124, v251, v124 quad_perm:[0,0,0,0] row_mask:0xf bank_mask:0xf// 0000000207B8: 0AF8F8FA FF0000FB
	v_mul_f32_dpp v125, v251, v125 quad_perm:[1,1,1,1] row_mask:0xf bank_mask:0xf// 0000000207C0: 0AFAFAFA FF0055FB
	v_mul_f32_dpp v126, v251, v126 quad_perm:[2,2,2,2] row_mask:0xf bank_mask:0xf// 0000000207C8: 0AFCFCFA FF00AAFB
	v_mul_f32_dpp v127, v251, v127 quad_perm:[3,3,3,3] row_mask:0xf bank_mask:0xf// 0000000207D0: 0AFEFEFA FF00FFFB
	buffer_load_dwordx4 a[52:55], v28, s[16:19], 0 offen offset:1024// 0000000207D8: E05C1400 8084341C
	v_mov_b32_e32 v48, v112                                    // 0000000207E0: 7E600370
	v_max3_f32 v48, v112, v113, v48                            // 0000000207E4: D1D30030 04C2E370
	v_max3_f32 v48, v114, v115, v48                            // 0000000207EC: D1D30030 04C2E772
	v_max3_f32 v48, v116, v117, v48                            // 0000000207F4: D1D30030 04C2EB74
	v_max3_f32 v48, v118, v119, v48                            // 0000000207FC: D1D30030 04C2EF76
	v_max3_f32 v48, v120, v121, v48                            // 000000020804: D1D30030 04C2F378
	v_max3_f32 v48, v122, v123, v48                            // 00000002080C: D1D30030 04C2F77A
	v_max3_f32 v48, v124, v125, v48                            // 000000020814: D1D30030 04C2FB7C
	v_max3_f32 v48, v126, v127, v48                            // 00000002081C: D1D30030 04C2FF7E
	ds_write_b32 v8, v48 offset:16896                          // 000000020824: D81A4200 00003008
	buffer_load_dwordx4 a[56:59], v29, s[16:19], 0 offen       // 00000002082C: E05C1000 8084381D
	v_mul_u32_u24_dpp v64, v17, v54 row_newbcast:1 row_mask:0xf bank_mask:0xf// 000000020834: 10806CFA FF015111
	v_mul_u32_u24_dpp v65, v17, v54 row_newbcast:5 row_mask:0xf bank_mask:0xf// 00000002083C: 10826CFA FF015511
	v_mul_u32_u24_dpp v66, v17, v54 row_newbcast:9 row_mask:0xf bank_mask:0xf// 000000020844: 10846CFA FF015911
	v_mul_u32_u24_dpp v67, v17, v54 row_newbcast:13 row_mask:0xf bank_mask:0xf// 00000002084C: 10866CFA FF015D11
	v_add_u32_e32 v34, v64, v6                                 // 000000020854: 68440D40
	v_add_u32_e32 v35, v65, v6                                 // 000000020858: 68460D41
	v_add_u32_e32 v36, v66, v6                                 // 00000002085C: 68480D42
	v_add_u32_e32 v37, v67, v6                                 // 000000020860: 684A0D43
	v_mul_f32_e32 v208, v49, v208                              // 000000020864: 0BA1A131
	v_mul_f32_e32 v209, v49, v209                              // 000000020868: 0BA3A331
	v_mul_f32_e32 v210, v49, v210                              // 00000002086C: 0BA5A531
	v_mul_f32_e32 v211, v49, v211                              // 000000020870: 0BA7A731
	v_mul_f32_e32 v212, v49, v212                              // 000000020874: 0BA9A931
	v_mul_f32_e32 v213, v49, v213                              // 000000020878: 0BABAB31
	v_mul_f32_e32 v214, v49, v214                              // 00000002087C: 0BADAD31
	v_mul_f32_e32 v215, v49, v215                              // 000000020880: 0BAFAF31
	s_waitcnt lgkmcnt(0)                                       // 000000020884: BF8CC07F
	s_barrier                                                  // 000000020888: BF8A0000
	ds_read_b32 v64, v7 offset:16896                           // 00000002088C: D86C4200 40000007
	ds_read_b32 v65, v7 offset:16960                           // 000000020894: D86C4240 41000007
	ds_read_b32 v66, v7 offset:17024                           // 00000002089C: D86C4280 42000007
	ds_read_b32 v67, v7 offset:17088                           // 0000000208A4: D86C42C0 43000007
	ds_read_b32 v68, v7 offset:17152                           // 0000000208AC: D86C4300 44000007
	ds_read_b32 v69, v7 offset:17216                           // 0000000208B4: D86C4340 45000007
	ds_read_b32 v70, v7 offset:17280                           // 0000000208BC: D86C4380 46000007
	ds_read_b32 v71, v7 offset:17344                           // 0000000208C4: D86C43C0 47000007
	ds_read_b32 v72, v7 offset:17408                           // 0000000208CC: D86C4400 48000007
	ds_read_b32 v73, v7 offset:17472                           // 0000000208D4: D86C4440 49000007
	ds_read_b32 v74, v7 offset:17536                           // 0000000208DC: D86C4480 4A000007
	ds_read_b32 v75, v7 offset:17600                           // 0000000208E4: D86C44C0 4B000007
	ds_read_b32 v76, v7 offset:17664                           // 0000000208EC: D86C4500 4C000007
	ds_read_b32 v77, v7 offset:17728                           // 0000000208F4: D86C4540 4D000007
	ds_read_b32 v78, v7 offset:17792                           // 0000000208FC: D86C4580 4E000007
	ds_read_b32 v79, v7 offset:17856                           // 000000020904: D86C45C0 4F000007
	buffer_load_dwordx4 a[60:63], v29, s[16:19], 0 offen offset:1024// 00000002090C: E05C1400 80843C1D
	v_cvt_f32_i32_e32 v176, v176                               // 000000020914: 7F600BB0
	v_cvt_f32_i32_e32 v177, v177                               // 000000020918: 7F620BB1
	v_cvt_f32_i32_e32 v178, v178                               // 00000002091C: 7F640BB2
	v_cvt_f32_i32_e32 v179, v179                               // 000000020920: 7F660BB3
	v_cvt_f32_i32_e32 v180, v180                               // 000000020924: 7F680BB4
	v_cvt_f32_i32_e32 v181, v181                               // 000000020928: 7F6A0BB5
	v_cvt_f32_i32_e32 v182, v182                               // 00000002092C: 7F6C0BB6
	v_cvt_f32_i32_e32 v183, v183                               // 000000020930: 7F6E0BB7
	v_mul_f32_e32 v176, v44, v176                              // 000000020934: 0B61612C
	v_mul_f32_e32 v177, v44, v177                              // 000000020938: 0B63632C
	v_mul_f32_e32 v178, v44, v178                              // 00000002093C: 0B65652C
	v_mul_f32_e32 v179, v44, v179                              // 000000020940: 0B67672C
	v_mul_f32_e32 v180, v44, v180                              // 000000020944: 0B69692C
	v_mul_f32_e32 v181, v44, v181                              // 000000020948: 0B6B6B2C
	v_mul_f32_e32 v182, v44, v182                              // 00000002094C: 0B6D6D2C
	v_mul_f32_e32 v183, v44, v183                              // 000000020950: 0B6F6F2C
	s_waitcnt lgkmcnt(0)                                       // 000000020954: BF8CC07F
	v_max3_f32 v48, v64, v65, v48                              // 000000020958: D1D30030 04C28340
	v_max3_f32 v48, v66, v67, v48                              // 000000020960: D1D30030 04C28742
	v_max3_f32 v48, v68, v69, v48                              // 000000020968: D1D30030 04C28B44
	v_max3_f32 v48, v70, v71, v48                              // 000000020970: D1D30030 04C28F46
	v_max3_f32 v48, v72, v73, v48                              // 000000020978: D1D30030 04C29348
	v_max3_f32 v48, v74, v75, v48                              // 000000020980: D1D30030 04C2974A
	v_max3_f32 v48, v76, v77, v48                              // 000000020988: D1D30030 04C29B4C
	v_max3_f32 v48, v78, v79, v48                              // 000000020990: D1D30030 04C29F4E
	buffer_load_dwordx4 a[96:99], v34, s[20:23], 0 offen       // 000000020998: E05C1000 80856022
	v_mov_b32_e32 v64, 0xff800000                              // 0000000209A0: 7E8002FF FF800000
	v_cmp_eq_u32_e64 s[40:41], v64, v11                        // 0000000209A8: D0CA0028 00021740
	s_nop 1                                                    // 0000000209B0: BF800001
	v_max_f32_e32 v15, v48, v11                                // 0000000209B4: 161E1730
	v_mul_f32_e32 v53, s64, v15                                // 0000000209B8: 0A6A1E40
	v_fma_f32 v112, v112, s64, -v53                            // 0000000209BC: D1CB0070 84D48170
	v_fma_f32 v113, v113, s64, -v53                            // 0000000209C4: D1CB0071 84D48171
	v_fma_f32 v114, v114, s64, -v53                            // 0000000209CC: D1CB0072 84D48172
	v_fma_f32 v115, v115, s64, -v53                            // 0000000209D4: D1CB0073 84D48173
	v_fma_f32 v116, v116, s64, -v53                            // 0000000209DC: D1CB0074 84D48174
	v_fma_f32 v117, v117, s64, -v53                            // 0000000209E4: D1CB0075 84D48175
	v_fma_f32 v118, v118, s64, -v53                            // 0000000209EC: D1CB0076 84D48176
	v_fma_f32 v119, v119, s64, -v53                            // 0000000209F4: D1CB0077 84D48177
	v_fma_f32 v120, v120, s64, -v53                            // 0000000209FC: D1CB0078 84D48178
	v_fma_f32 v121, v121, s64, -v53                            // 000000020A04: D1CB0079 84D48179
	v_fma_f32 v122, v122, s64, -v53                            // 000000020A0C: D1CB007A 84D4817A
	v_fma_f32 v123, v123, s64, -v53                            // 000000020A14: D1CB007B 84D4817B
	v_fma_f32 v124, v124, s64, -v53                            // 000000020A1C: D1CB007C 84D4817C
	v_fma_f32 v125, v125, s64, -v53                            // 000000020A24: D1CB007D 84D4817D
	v_fma_f32 v126, v126, s64, -v53                            // 000000020A2C: D1CB007E 84D4817E
	v_fma_f32 v127, v127, s64, -v53                            // 000000020A34: D1CB007F 84D4817F
	buffer_load_dwordx4 a[100:103], v35, s[20:23], 0 offen     // 000000020A3C: E05C1000 80856423
	v_exp_f32_e32 v112, v112                                   // 000000020A44: 7EE04170
	v_exp_f32_e32 v113, v113                                   // 000000020A48: 7EE24171
	v_exp_f32_e32 v114, v114                                   // 000000020A4C: 7EE44172
	v_exp_f32_e32 v115, v115                                   // 000000020A50: 7EE64173
	v_exp_f32_e32 v116, v116                                   // 000000020A54: 7EE84174
	v_exp_f32_e32 v117, v117                                   // 000000020A58: 7EEA4175
	v_exp_f32_e32 v118, v118                                   // 000000020A5C: 7EEC4176
	v_exp_f32_e32 v119, v119                                   // 000000020A60: 7EEE4177
	v_exp_f32_e32 v120, v120                                   // 000000020A64: 7EF04178
	v_exp_f32_e32 v121, v121                                   // 000000020A68: 7EF24179
	v_exp_f32_e32 v122, v122                                   // 000000020A6C: 7EF4417A
	v_exp_f32_e32 v123, v123                                   // 000000020A70: 7EF6417B
	v_exp_f32_e32 v124, v124                                   // 000000020A74: 7EF8417C
	v_exp_f32_e32 v125, v125                                   // 000000020A78: 7EFA417D
	v_exp_f32_e32 v126, v126                                   // 000000020A7C: 7EFC417E
	v_exp_f32_e32 v127, v127                                   // 000000020A80: 7EFE417F
	buffer_load_dwordx4 a[104:107], v36, s[20:23], 0 offen     // 000000020A84: E05C1000 80856824
	v_mul_f32_dpp v240, v252, v112 quad_perm:[0,0,0,0] row_mask:0xf bank_mask:0xf// 000000020A8C: 0BE0E0FA FF0000FC
	v_mul_f32_dpp v241, v252, v113 quad_perm:[1,1,1,1] row_mask:0xf bank_mask:0xf// 000000020A94: 0BE2E2FA FF0055FC
	v_mul_f32_dpp v242, v252, v114 quad_perm:[2,2,2,2] row_mask:0xf bank_mask:0xf// 000000020A9C: 0BE4E4FA FF00AAFC
	v_mul_f32_dpp v243, v252, v115 quad_perm:[3,3,3,3] row_mask:0xf bank_mask:0xf// 000000020AA4: 0BE6E6FA FF00FFFC
	v_mul_f32_dpp v244, v253, v116 quad_perm:[0,0,0,0] row_mask:0xf bank_mask:0xf// 000000020AAC: 0BE8E8FA FF0000FD
	v_mul_f32_dpp v245, v253, v117 quad_perm:[1,1,1,1] row_mask:0xf bank_mask:0xf// 000000020AB4: 0BEAEAFA FF0055FD
	v_mul_f32_dpp v246, v253, v118 quad_perm:[2,2,2,2] row_mask:0xf bank_mask:0xf// 000000020ABC: 0BECECFA FF00AAFD
	v_mul_f32_dpp v247, v253, v119 quad_perm:[3,3,3,3] row_mask:0xf bank_mask:0xf// 000000020AC4: 0BEEEEFA FF00FFFD
	v_mul_f32_dpp v248, v254, v120 quad_perm:[0,0,0,0] row_mask:0xf bank_mask:0xf// 000000020ACC: 0BF0F0FA FF0000FE
	v_mul_f32_dpp v249, v254, v121 quad_perm:[1,1,1,1] row_mask:0xf bank_mask:0xf// 000000020AD4: 0BF2F2FA FF0055FE
	v_mul_f32_dpp v250, v254, v122 quad_perm:[2,2,2,2] row_mask:0xf bank_mask:0xf// 000000020ADC: 0BF4F4FA FF00AAFE
	v_mul_f32_dpp v251, v254, v123 quad_perm:[3,3,3,3] row_mask:0xf bank_mask:0xf// 000000020AE4: 0BF6F6FA FF00FFFE
	v_mul_f32_dpp v252, v255, v124 quad_perm:[0,0,0,0] row_mask:0xf bank_mask:0xf// 000000020AEC: 0BF8F8FA FF0000FF
	v_mul_f32_dpp v253, v255, v125 quad_perm:[1,1,1,1] row_mask:0xf bank_mask:0xf// 000000020AF4: 0BFAFAFA FF0055FF
	v_mul_f32_dpp v254, v255, v126 quad_perm:[2,2,2,2] row_mask:0xf bank_mask:0xf// 000000020AFC: 0BFCFCFA FF00AAFF
	v_mul_f32_dpp v255, v255, v127 quad_perm:[3,3,3,3] row_mask:0xf bank_mask:0xf// 000000020B04: 0BFEFEFA FF00FFFF
	v_mov_b32_e32 v48, 0x358637bd                              // 000000020B0C: 7E6002FF 358637BD
	v_max3_f32 v48, |v240|, |v241|, v48                        // 000000020B14: D1D30330 04C3E3F0
	v_max3_f32 v48, |v242|, |v243|, v48                        // 000000020B1C: D1D30330 04C3E7F2
	v_max3_f32 v48, |v244|, |v245|, v48                        // 000000020B24: D1D30330 04C3EBF4
	v_max3_f32 v48, |v246|, |v247|, v48                        // 000000020B2C: D1D30330 04C3EFF6
	v_max3_f32 v48, |v248|, |v249|, v48                        // 000000020B34: D1D30330 04C3F3F8
	v_max3_f32 v48, |v250|, |v251|, v48                        // 000000020B3C: D1D30330 04C3F7FA
	v_max3_f32 v48, |v252|, |v253|, v48                        // 000000020B44: D1D30330 04C3FBFC
	v_max3_f32 v48, |v254|, |v255|, v48                        // 000000020B4C: D1D30330 04C3FFFE
	buffer_load_dwordx4 a[108:111], v37, s[20:23], 0 offen     // 000000020B54: E05C1000 80856C25
	ds_write_b32 v8, v48 offset:20992                          // 000000020B5C: D81A5200 00003008
	v_sub_f32_e32 v49, v11, v15                                // 000000020B64: 04621F0B
	v_cndmask_b32_e64 v49, v49, 0, s[40:41]                    // 000000020B68: D1000031 00A10131
	v_mov_b32_e32 v11, v15                                     // 000000020B70: 7E16030F
	v_mul_f32_e32 v49, s64, v49                                // 000000020B74: 0A626240
	v_exp_f32_e32 v49, v49                                     // 000000020B78: 7E624131
	s_waitcnt lgkmcnt(0)                                       // 000000020B7C: BF8CC07F
	s_barrier                                                  // 000000020B80: BF8A0000
	ds_read_b32 v64, v7 offset:20992                           // 000000020B84: D86C5200 40000007
	ds_read_b32 v65, v7 offset:21056                           // 000000020B8C: D86C5240 41000007
	ds_read_b32 v66, v7 offset:21120                           // 000000020B94: D86C5280 42000007
	ds_read_b32 v67, v7 offset:21184                           // 000000020B9C: D86C52C0 43000007
	ds_read_b32 v68, v7 offset:21248                           // 000000020BA4: D86C5300 44000007
	ds_read_b32 v69, v7 offset:21312                           // 000000020BAC: D86C5340 45000007
	ds_read_b32 v70, v7 offset:21376                           // 000000020BB4: D86C5380 46000007
	ds_read_b32 v71, v7 offset:21440                           // 000000020BBC: D86C53C0 47000007
	ds_read_b32 v72, v7 offset:21504                           // 000000020BC4: D86C5400 48000007
	ds_read_b32 v73, v7 offset:21568                           // 000000020BCC: D86C5440 49000007
	ds_read_b32 v74, v7 offset:21632                           // 000000020BD4: D86C5480 4A000007
	ds_read_b32 v75, v7 offset:21696                           // 000000020BDC: D86C54C0 4B000007
	ds_read_b32 v76, v7 offset:21760                           // 000000020BE4: D86C5500 4C000007
	ds_read_b32 v77, v7 offset:21824                           // 000000020BEC: D86C5540 4D000007
	ds_read_b32 v78, v7 offset:21888                           // 000000020BF4: D86C5580 4E000007
	ds_read_b32 v79, v7 offset:21952                           // 000000020BFC: D86C55C0 4F000007
	v_mul_f32_e32 v38, v49, v38                                // 000000020C04: 0A4C4D31
	v_mov_b32_e32 v15, v112                                    // 000000020C08: 7E1E0370
	v_add_f32_e32 v15, v113, v15                               // 000000020C0C: 021E1F71
	v_add_f32_e32 v15, v114, v15                               // 000000020C10: 021E1F72
	v_add_f32_e32 v15, v115, v15                               // 000000020C14: 021E1F73
	v_add_f32_e32 v15, v116, v15                               // 000000020C18: 021E1F74
	v_add_f32_e32 v15, v117, v15                               // 000000020C1C: 021E1F75
	v_add_f32_e32 v15, v118, v15                               // 000000020C20: 021E1F76
	v_add_f32_e32 v15, v119, v15                               // 000000020C24: 021E1F77
	v_add_f32_e32 v15, v120, v15                               // 000000020C28: 021E1F78
	v_add_f32_e32 v15, v121, v15                               // 000000020C2C: 021E1F79
	v_add_f32_e32 v15, v122, v15                               // 000000020C30: 021E1F7A
	v_add_f32_e32 v15, v123, v15                               // 000000020C34: 021E1F7B
	v_add_f32_e32 v15, v124, v15                               // 000000020C38: 021E1F7C
	v_add_f32_e32 v15, v125, v15                               // 000000020C3C: 021E1F7D
	v_add_f32_e32 v15, v126, v15                               // 000000020C40: 021E1F7E
	v_add_f32_e32 v15, v127, v15                               // 000000020C44: 021E1F7F
	v_add_f32_e32 v38, v15, v38                                // 000000020C48: 024C4D0F
	s_waitcnt lgkmcnt(0)                                       // 000000020C4C: BF8CC07F
	v_max3_f32 v48, |v64|, |v65|, v48                          // 000000020C50: D1D30330 04C28340
	v_max3_f32 v48, |v66|, |v67|, v48                          // 000000020C58: D1D30330 04C28742
	v_max3_f32 v48, |v68|, |v69|, v48                          // 000000020C60: D1D30330 04C28B44
	v_max3_f32 v48, |v70|, |v71|, v48                          // 000000020C68: D1D30330 04C28F46
	v_max3_f32 v48, |v72|, |v73|, v48                          // 000000020C70: D1D30330 04C29348
	v_max3_f32 v48, |v74|, |v75|, v48                          // 000000020C78: D1D30330 04C2974A
	v_max3_f32 v48, |v76|, |v77|, v48                          // 000000020C80: D1D30330 04C29B4C
	v_max3_f32 v48, |v78|, |v79|, v48                          // 000000020C88: D1D30330 04C29F4E
	s_nop 2                                                    // 000000020C90: BF800002
	v_rcp_f32_e32 v48, v48                                     // 000000020C94: 7E604530
	s_nop 1                                                    // 000000020C98: BF800001
	v_mul_f32_e32 v48, 0x42fe0000, v48                         // 000000020C9C: 0A6060FF 42FE0000
	v_mul_f32_e32 v112, v48, v240                              // 000000020CA4: 0AE1E130
	v_mul_f32_e32 v113, v48, v241                              // 000000020CA8: 0AE3E330
	v_mul_f32_e32 v114, v48, v242                              // 000000020CAC: 0AE5E530
	v_mul_f32_e32 v115, v48, v243                              // 000000020CB0: 0AE7E730
	v_mul_f32_e32 v116, v48, v244                              // 000000020CB4: 0AE9E930
	v_mul_f32_e32 v117, v48, v245                              // 000000020CB8: 0AEBEB30
	v_mul_f32_e32 v118, v48, v246                              // 000000020CBC: 0AEDED30
	v_mul_f32_e32 v119, v48, v247                              // 000000020CC0: 0AEFEF30
	v_mul_f32_e32 v120, v48, v248                              // 000000020CC4: 0AF1F130
	v_mul_f32_e32 v121, v48, v249                              // 000000020CC8: 0AF3F330
	v_mul_f32_e32 v122, v48, v250                              // 000000020CCC: 0AF5F530
	v_mul_f32_e32 v123, v48, v251                              // 000000020CD0: 0AF7F730
	v_mul_f32_e32 v124, v48, v252                              // 000000020CD4: 0AF9F930
	v_mul_f32_e32 v125, v48, v253                              // 000000020CD8: 0AFBFB30
	v_mul_f32_e32 v126, v48, v254                              // 000000020CDC: 0AFDFD30
	v_mul_f32_e32 v127, v48, v255                              // 000000020CE0: 0AFFFF30
	v_cvt_i32_f32_e32 v112, v112                               // 000000020CE4: 7EE01170
	v_cvt_i32_f32_e32 v113, v113                               // 000000020CE8: 7EE21171
	v_cvt_i32_f32_e32 v114, v114                               // 000000020CEC: 7EE41172
	v_cvt_i32_f32_e32 v115, v115                               // 000000020CF0: 7EE61173
	v_cvt_i32_f32_e32 v116, v116                               // 000000020CF4: 7EE81174
	v_cvt_i32_f32_e32 v117, v117                               // 000000020CF8: 7EEA1175
	v_cvt_i32_f32_e32 v118, v118                               // 000000020CFC: 7EEC1176
	v_cvt_i32_f32_e32 v119, v119                               // 000000020D00: 7EEE1177
	v_cvt_i32_f32_e32 v120, v120                               // 000000020D04: 7EF01178
	v_cvt_i32_f32_e32 v121, v121                               // 000000020D08: 7EF21179
	v_cvt_i32_f32_e32 v122, v122                               // 000000020D0C: 7EF4117A
	v_cvt_i32_f32_e32 v123, v123                               // 000000020D10: 7EF6117B
	v_cvt_i32_f32_e32 v124, v124                               // 000000020D14: 7EF8117C
	v_cvt_i32_f32_e32 v125, v125                               // 000000020D18: 7EFA117D
	v_cvt_i32_f32_e32 v126, v126                               // 000000020D1C: 7EFC117E
	v_cvt_i32_f32_e32 v127, v127                               // 000000020D20: 7EFE117F
	v_perm_b32 v112, v113, v112, s53                           // 000000020D24: D1ED0070 00D6E171
	v_perm_b32 v112, v114, v112, s54                           // 000000020D2C: D1ED0070 00DAE172
	v_perm_b32 v112, v115, v112, s55                           // 000000020D34: D1ED0070 00DEE173
	v_perm_b32 v113, v117, v116, s53                           // 000000020D3C: D1ED0071 00D6E975
	v_perm_b32 v113, v118, v113, s54                           // 000000020D44: D1ED0071 00DAE376
	v_perm_b32 v113, v119, v113, s55                           // 000000020D4C: D1ED0071 00DEE377
	v_perm_b32 v114, v121, v120, s53                           // 000000020D54: D1ED0072 00D6F179
	v_perm_b32 v114, v122, v114, s54                           // 000000020D5C: D1ED0072 00DAE57A
	v_perm_b32 v114, v123, v114, s55                           // 000000020D64: D1ED0072 00DEE57B
	v_perm_b32 v115, v125, v124, s53                           // 000000020D6C: D1ED0073 00D6F97D
	v_perm_b32 v115, v126, v115, s54                           // 000000020D74: D1ED0073 00DAE77E
	v_perm_b32 v115, v127, v115, s55                           // 000000020D7C: D1ED0073 00DEE77F
	ds_write_b32 v10, v112 offset:25088                        // 000000020D84: D81A6200 0000700A
	ds_write_b32 v10, v113 offset:26112                        // 000000020D8C: D81A6600 0000710A
	ds_write_b32 v10, v114 offset:27136                        // 000000020D94: D81A6A00 0000720A
	ds_write_b32 v10, v115 offset:28160                        // 000000020D9C: D81A6E00 0000730A
	v_add_f32_e32 v208, v208, v176                             // 000000020DA4: 03A161D0
	v_add_f32_e32 v209, v209, v177                             // 000000020DA8: 03A363D1
	v_add_f32_e32 v210, v210, v178                             // 000000020DAC: 03A565D2
	v_add_f32_e32 v211, v211, v179                             // 000000020DB0: 03A767D3
	v_add_f32_e32 v212, v212, v180                             // 000000020DB4: 03A969D4
	v_add_f32_e32 v213, v213, v181                             // 000000020DB8: 03AB6BD5
	v_add_f32_e32 v214, v214, v182                             // 000000020DBC: 03AD6DD6
	v_add_f32_e32 v215, v215, v183                             // 000000020DC0: 03AF6FD7
	v_rcp_f32_e32 v44, v48                                     // 000000020DC4: 7E584530
	s_waitcnt lgkmcnt(0)                                       // 000000020DC8: BF8CC07F
	s_barrier                                                  // 000000020DCC: BF8A0000
	ds_read_b64 v[112:113], v9 offset:25088                    // 000000020DD0: D8EC6200 70000009
	ds_read_b64 v[114:115], v9 offset:25216                    // 000000020DD8: D8EC6280 72000009
	ds_read_b64 v[116:117], v9 offset:26112                    // 000000020DE0: D8EC6600 74000009
	ds_read_b64 v[118:119], v9 offset:26240                    // 000000020DE8: D8EC6680 76000009
	ds_read_b64 v[120:121], v9 offset:27136                    // 000000020DF0: D8EC6A00 78000009
	ds_read_b64 v[122:123], v9 offset:27264                    // 000000020DF8: D8EC6A80 7A000009
	ds_read_b64 v[124:125], v9 offset:28160                    // 000000020E00: D8EC6E00 7C000009
	ds_read_b64 v[126:127], v9 offset:28288                    // 000000020E08: D8EC6E80 7E000009
	v_mov_b32_dpp v64, v42 row_shr:4 row_mask:0xf bank_mask:0xf// 000000020E10: 7E8002FA FF01142A
	v_mov_b32_dpp v65, v42 row_shl:4 row_mask:0xf bank_mask:0xf// 000000020E18: 7E8202FA FF01042A
	v_cndmask_b32_e64 v248, v42, v64, s[44:45]                 // 000000020E20: D10000F8 00B2812A
	v_cndmask_b32_e64 v249, v65, v42, s[44:45]                 // 000000020E28: D10000F9 00B25541
	v_mov_b32_dpp v64, v248 row_shr:8 row_mask:0xf bank_mask:0xf// 000000020E30: 7E8002FA FF0118F8
	v_mov_b32_dpp v65, v248 row_shl:8 row_mask:0xf bank_mask:0xf// 000000020E38: 7E8202FA FF0108F8
	v_mov_b32_dpp v66, v249 row_shr:8 row_mask:0xf bank_mask:0xf// 000000020E40: 7E8402FA FF0118F9
	v_mov_b32_dpp v67, v249 row_shl:8 row_mask:0xf bank_mask:0xf// 000000020E48: 7E8602FA FF0108F9
	v_mov_b32_e32 v68, v248                                    // 000000020E50: 7E8803F8
	v_mov_b32_e32 v69, v249                                    // 000000020E54: 7E8A03F9
	v_cndmask_b32_e64 v248, v68, v64, s[42:43]                 // 000000020E58: D10000F8 00AA8144
	v_cndmask_b32_e64 v250, v68, v65, s[78:79]                 // 000000020E60: D10000FA 013A8344
	v_cndmask_b32_e64 v249, v69, v66, s[42:43]                 // 000000020E68: D10000F9 00AA8545
	v_cndmask_b32_e64 v251, v69, v67, s[78:79]                 // 000000020E70: D10000FB 013A8745
	v_mov_b32_dpp v64, v57 row_shr:4 row_mask:0xf bank_mask:0xf// 000000020E78: 7E8002FA FF011439
	v_mov_b32_dpp v65, v57 row_shl:4 row_mask:0xf bank_mask:0xf// 000000020E80: 7E8202FA FF010439
	v_cndmask_b32_e64 v252, v57, v64, s[44:45]                 // 000000020E88: D10000FC 00B28139
	v_cndmask_b32_e64 v253, v65, v57, s[44:45]                 // 000000020E90: D10000FD 00B27341
	v_mov_b32_dpp v64, v252 row_shr:8 row_mask:0xf bank_mask:0xf// 000000020E98: 7E8002FA FF0118FC
	v_mov_b32_dpp v65, v252 row_shl:8 row_mask:0xf bank_mask:0xf// 000000020EA0: 7E8202FA FF0108FC
	v_mov_b32_dpp v66, v253 row_shr:8 row_mask:0xf bank_mask:0xf// 000000020EA8: 7E8402FA FF0118FD
	v_mov_b32_dpp v67, v253 row_shl:8 row_mask:0xf bank_mask:0xf// 000000020EB0: 7E8602FA FF0108FD
	v_mov_b32_e32 v68, v252                                    // 000000020EB8: 7E8803FC
	v_mov_b32_e32 v69, v253                                    // 000000020EBC: 7E8A03FD
	v_cndmask_b32_e64 v252, v68, v64, s[42:43]                 // 000000020EC0: D10000FC 00AA8144
	v_cndmask_b32_e64 v254, v68, v65, s[78:79]                 // 000000020EC8: D10000FE 013A8344
	v_cndmask_b32_e64 v253, v69, v66, s[42:43]                 // 000000020ED0: D10000FD 00AA8545
	v_cndmask_b32_e64 v255, v69, v67, s[78:79]                 // 000000020ED8: D10000FF 013A8745
	v_cvt_f32_i32_e32 v128, v128                               // 000000020EE0: 7F000B80
	v_cvt_f32_i32_e32 v129, v129                               // 000000020EE4: 7F020B81
	v_cvt_f32_i32_e32 v130, v130                               // 000000020EE8: 7F040B82
	v_cvt_f32_i32_e32 v131, v131                               // 000000020EEC: 7F060B83
	v_cvt_f32_i32_e32 v132, v132                               // 000000020EF0: 7F080B84
	v_cvt_f32_i32_e32 v133, v133                               // 000000020EF4: 7F0A0B85
	v_cvt_f32_i32_e32 v134, v134                               // 000000020EF8: 7F0C0B86
	v_cvt_f32_i32_e32 v135, v135                               // 000000020EFC: 7F0E0B87
	v_cvt_f32_i32_e32 v136, v136                               // 000000020F00: 7F100B88
	v_cvt_f32_i32_e32 v137, v137                               // 000000020F04: 7F120B89
	v_cvt_f32_i32_e32 v138, v138                               // 000000020F08: 7F140B8A
	v_cvt_f32_i32_e32 v139, v139                               // 000000020F0C: 7F160B8B
	v_cvt_f32_i32_e32 v140, v140                               // 000000020F10: 7F180B8C
	v_cvt_f32_i32_e32 v141, v141                               // 000000020F14: 7F1A0B8D
	v_cvt_f32_i32_e32 v142, v142                               // 000000020F18: 7F1C0B8E
	v_cvt_f32_i32_e32 v143, v143                               // 000000020F1C: 7F1E0B8F
	v_mul_f32_e32 v128, v19, v128                              // 000000020F20: 0B010113
	v_mul_f32_e32 v129, v19, v129                              // 000000020F24: 0B030313
	v_mul_f32_e32 v130, v19, v130                              // 000000020F28: 0B050513
	v_mul_f32_e32 v131, v19, v131                              // 000000020F2C: 0B070713
	v_mul_f32_e32 v132, v19, v132                              // 000000020F30: 0B090913
	v_mul_f32_e32 v133, v19, v133                              // 000000020F34: 0B0B0B13
	v_mul_f32_e32 v134, v19, v134                              // 000000020F38: 0B0D0D13
	v_mul_f32_e32 v135, v19, v135                              // 000000020F3C: 0B0F0F13
	v_mul_f32_e32 v136, v19, v136                              // 000000020F40: 0B111113
	v_mul_f32_e32 v137, v19, v137                              // 000000020F44: 0B131313
	v_mul_f32_e32 v138, v19, v138                              // 000000020F48: 0B151513
	v_mul_f32_e32 v139, v19, v139                              // 000000020F4C: 0B171713
	v_mul_f32_e32 v140, v19, v140                              // 000000020F50: 0B191913
	v_mul_f32_e32 v141, v19, v141                              // 000000020F54: 0B1B1B13
	v_mul_f32_e32 v142, v19, v142                              // 000000020F58: 0B1D1D13
	v_mul_f32_e32 v143, v19, v143                              // 000000020F5C: 0B1F1F13
	v_mul_f32_dpp v128, v248, v128 quad_perm:[0,0,0,0] row_mask:0xf bank_mask:0xf// 000000020F60: 0B0100FA FF0000F8
	v_mul_f32_dpp v129, v248, v129 quad_perm:[1,1,1,1] row_mask:0xf bank_mask:0xf// 000000020F68: 0B0302FA FF0055F8
	v_mul_f32_dpp v130, v248, v130 quad_perm:[2,2,2,2] row_mask:0xf bank_mask:0xf// 000000020F70: 0B0504FA FF00AAF8
	v_mul_f32_dpp v131, v248, v131 quad_perm:[3,3,3,3] row_mask:0xf bank_mask:0xf// 000000020F78: 0B0706FA FF00FFF8
	v_mul_f32_dpp v132, v249, v132 quad_perm:[0,0,0,0] row_mask:0xf bank_mask:0xf// 000000020F80: 0B0908FA FF0000F9
	v_mul_f32_dpp v133, v249, v133 quad_perm:[1,1,1,1] row_mask:0xf bank_mask:0xf// 000000020F88: 0B0B0AFA FF0055F9
	v_mul_f32_dpp v134, v249, v134 quad_perm:[2,2,2,2] row_mask:0xf bank_mask:0xf// 000000020F90: 0B0D0CFA FF00AAF9
	v_mul_f32_dpp v135, v249, v135 quad_perm:[3,3,3,3] row_mask:0xf bank_mask:0xf// 000000020F98: 0B0F0EFA FF00FFF9
	v_mul_f32_dpp v136, v250, v136 quad_perm:[0,0,0,0] row_mask:0xf bank_mask:0xf// 000000020FA0: 0B1110FA FF0000FA
	v_mul_f32_dpp v137, v250, v137 quad_perm:[1,1,1,1] row_mask:0xf bank_mask:0xf// 000000020FA8: 0B1312FA FF0055FA
	v_mul_f32_dpp v138, v250, v138 quad_perm:[2,2,2,2] row_mask:0xf bank_mask:0xf// 000000020FB0: 0B1514FA FF00AAFA
	v_mul_f32_dpp v139, v250, v139 quad_perm:[3,3,3,3] row_mask:0xf bank_mask:0xf// 000000020FB8: 0B1716FA FF00FFFA
	v_mul_f32_dpp v140, v251, v140 quad_perm:[0,0,0,0] row_mask:0xf bank_mask:0xf// 000000020FC0: 0B1918FA FF0000FB
	v_mul_f32_dpp v141, v251, v141 quad_perm:[1,1,1,1] row_mask:0xf bank_mask:0xf// 000000020FC8: 0B1B1AFA FF0055FB
	v_mul_f32_dpp v142, v251, v142 quad_perm:[2,2,2,2] row_mask:0xf bank_mask:0xf// 000000020FD0: 0B1D1CFA FF00AAFB
	v_mul_f32_dpp v143, v251, v143 quad_perm:[3,3,3,3] row_mask:0xf bank_mask:0xf// 000000020FD8: 0B1F1EFA FF00FFFB
	v_mov_b32_e32 v48, v128                                    // 000000020FE0: 7E600380
	v_max3_f32 v48, v128, v129, v48                            // 000000020FE4: D1D30030 04C30380
	v_max3_f32 v48, v130, v131, v48                            // 000000020FEC: D1D30030 04C30782
	v_max3_f32 v48, v132, v133, v48                            // 000000020FF4: D1D30030 04C30B84
	v_max3_f32 v48, v134, v135, v48                            // 000000020FFC: D1D30030 04C30F86
	v_max3_f32 v48, v136, v137, v48                            // 000000021004: D1D30030 04C31388
	v_max3_f32 v48, v138, v139, v48                            // 00000002100C: D1D30030 04C3178A
	v_max3_f32 v48, v140, v141, v48                            // 000000021014: D1D30030 04C31B8C
	v_max3_f32 v48, v142, v143, v48                            // 00000002101C: D1D30030 04C31F8E
	ds_write_b32 v8, v48 offset:16896                          // 000000021024: D81A4200 00003008
	v_mul_f32_e32 v216, v50, v216                              // 00000002102C: 0BB1B132
	v_mul_f32_e32 v217, v50, v217                              // 000000021030: 0BB3B332
	v_mul_f32_e32 v218, v50, v218                              // 000000021034: 0BB5B532
	v_mul_f32_e32 v219, v50, v219                              // 000000021038: 0BB7B732
	v_mul_f32_e32 v220, v50, v220                              // 00000002103C: 0BB9B932
	v_mul_f32_e32 v221, v50, v221                              // 000000021040: 0BBBBB32
	v_mul_f32_e32 v222, v50, v222                              // 000000021044: 0BBDBD32
	v_mul_f32_e32 v223, v50, v223                              // 000000021048: 0BBFBF32
	s_waitcnt lgkmcnt(0)                                       // 00000002104C: BF8CC07F
	s_barrier                                                  // 000000021050: BF8A0000
	ds_read_b32 v64, v7 offset:16896                           // 000000021054: D86C4200 40000007
	ds_read_b32 v65, v7 offset:16960                           // 00000002105C: D86C4240 41000007
	ds_read_b32 v66, v7 offset:17024                           // 000000021064: D86C4280 42000007
	ds_read_b32 v67, v7 offset:17088                           // 00000002106C: D86C42C0 43000007
	ds_read_b32 v68, v7 offset:17152                           // 000000021074: D86C4300 44000007
	ds_read_b32 v69, v7 offset:17216                           // 00000002107C: D86C4340 45000007
	ds_read_b32 v70, v7 offset:17280                           // 000000021084: D86C4380 46000007
	ds_read_b32 v71, v7 offset:17344                           // 00000002108C: D86C43C0 47000007
	ds_read_b32 v72, v7 offset:17408                           // 000000021094: D86C4400 48000007
	ds_read_b32 v73, v7 offset:17472                           // 00000002109C: D86C4440 49000007
	ds_read_b32 v74, v7 offset:17536                           // 0000000210A4: D86C4480 4A000007
	ds_read_b32 v75, v7 offset:17600                           // 0000000210AC: D86C44C0 4B000007
	ds_read_b32 v76, v7 offset:17664                           // 0000000210B4: D86C4500 4C000007
	ds_read_b32 v77, v7 offset:17728                           // 0000000210BC: D86C4540 4D000007
	ds_read_b32 v78, v7 offset:17792                           // 0000000210C4: D86C4580 4E000007
	ds_read_b32 v79, v7 offset:17856                           // 0000000210CC: D86C45C0 4F000007
	v_cvt_f32_i32_e32 v184, v184                               // 0000000210D4: 7F700BB8
	v_cvt_f32_i32_e32 v185, v185                               // 0000000210D8: 7F720BB9
	v_cvt_f32_i32_e32 v186, v186                               // 0000000210DC: 7F740BBA
	v_cvt_f32_i32_e32 v187, v187                               // 0000000210E0: 7F760BBB
	v_cvt_f32_i32_e32 v188, v188                               // 0000000210E4: 7F780BBC
	v_cvt_f32_i32_e32 v189, v189                               // 0000000210E8: 7F7A0BBD
	v_cvt_f32_i32_e32 v190, v190                               // 0000000210EC: 7F7C0BBE
	v_cvt_f32_i32_e32 v191, v191                               // 0000000210F0: 7F7E0BBF
	v_mul_f32_e32 v184, v45, v184                              // 0000000210F4: 0B71712D
	v_mul_f32_e32 v185, v45, v185                              // 0000000210F8: 0B73732D
	v_mul_f32_e32 v186, v45, v186                              // 0000000210FC: 0B75752D
	v_mul_f32_e32 v187, v45, v187                              // 000000021100: 0B77772D
	v_mul_f32_e32 v188, v45, v188                              // 000000021104: 0B79792D
	v_mul_f32_e32 v189, v45, v189                              // 000000021108: 0B7B7B2D
	v_mul_f32_e32 v190, v45, v190                              // 00000002110C: 0B7D7D2D
	v_mul_f32_e32 v191, v45, v191                              // 000000021110: 0B7F7F2D
	s_waitcnt lgkmcnt(0)                                       // 000000021114: BF8CC07F
	v_max3_f32 v48, v64, v65, v48                              // 000000021118: D1D30030 04C28340
	v_max3_f32 v48, v66, v67, v48                              // 000000021120: D1D30030 04C28742
	v_max3_f32 v48, v68, v69, v48                              // 000000021128: D1D30030 04C28B44
	v_max3_f32 v48, v70, v71, v48                              // 000000021130: D1D30030 04C28F46
	v_max3_f32 v48, v72, v73, v48                              // 000000021138: D1D30030 04C29348
	v_max3_f32 v48, v74, v75, v48                              // 000000021140: D1D30030 04C2974A
	v_max3_f32 v48, v76, v77, v48                              // 000000021148: D1D30030 04C29B4C
	v_max3_f32 v48, v78, v79, v48                              // 000000021150: D1D30030 04C29F4E
	v_mov_b32_e32 v64, 0xff800000                              // 000000021158: 7E8002FF FF800000
	v_cmp_eq_u32_e64 s[40:41], v64, v12                        // 000000021160: D0CA0028 00021940
	s_nop 1                                                    // 000000021168: BF800001
	v_max_f32_e32 v15, v48, v12                                // 00000002116C: 161E1930
	v_mul_f32_e32 v53, s64, v15                                // 000000021170: 0A6A1E40
	v_fma_f32 v128, v128, s64, -v53                            // 000000021174: D1CB0080 84D48180
	v_fma_f32 v129, v129, s64, -v53                            // 00000002117C: D1CB0081 84D48181
	v_fma_f32 v130, v130, s64, -v53                            // 000000021184: D1CB0082 84D48182
	v_fma_f32 v131, v131, s64, -v53                            // 00000002118C: D1CB0083 84D48183
	v_fma_f32 v132, v132, s64, -v53                            // 000000021194: D1CB0084 84D48184
	v_fma_f32 v133, v133, s64, -v53                            // 00000002119C: D1CB0085 84D48185
	v_fma_f32 v134, v134, s64, -v53                            // 0000000211A4: D1CB0086 84D48186
	v_fma_f32 v135, v135, s64, -v53                            // 0000000211AC: D1CB0087 84D48187
	v_fma_f32 v136, v136, s64, -v53                            // 0000000211B4: D1CB0088 84D48188
	v_fma_f32 v137, v137, s64, -v53                            // 0000000211BC: D1CB0089 84D48189
	v_fma_f32 v138, v138, s64, -v53                            // 0000000211C4: D1CB008A 84D4818A
	v_fma_f32 v139, v139, s64, -v53                            // 0000000211CC: D1CB008B 84D4818B
	v_fma_f32 v140, v140, s64, -v53                            // 0000000211D4: D1CB008C 84D4818C
	v_fma_f32 v141, v141, s64, -v53                            // 0000000211DC: D1CB008D 84D4818D
	v_fma_f32 v142, v142, s64, -v53                            // 0000000211E4: D1CB008E 84D4818E
	v_fma_f32 v143, v143, s64, -v53                            // 0000000211EC: D1CB008F 84D4818F
	v_exp_f32_e32 v128, v128                                   // 0000000211F4: 7F004180
	v_exp_f32_e32 v129, v129                                   // 0000000211F8: 7F024181
	v_exp_f32_e32 v130, v130                                   // 0000000211FC: 7F044182
	v_exp_f32_e32 v131, v131                                   // 000000021200: 7F064183
	v_exp_f32_e32 v132, v132                                   // 000000021204: 7F084184
	v_exp_f32_e32 v133, v133                                   // 000000021208: 7F0A4185
	v_exp_f32_e32 v134, v134                                   // 00000002120C: 7F0C4186
	v_exp_f32_e32 v135, v135                                   // 000000021210: 7F0E4187
	v_exp_f32_e32 v136, v136                                   // 000000021214: 7F104188
	v_exp_f32_e32 v137, v137                                   // 000000021218: 7F124189
	v_exp_f32_e32 v138, v138                                   // 00000002121C: 7F14418A
	v_exp_f32_e32 v139, v139                                   // 000000021220: 7F16418B
	v_exp_f32_e32 v140, v140                                   // 000000021224: 7F18418C
	v_exp_f32_e32 v141, v141                                   // 000000021228: 7F1A418D
	v_exp_f32_e32 v142, v142                                   // 00000002122C: 7F1C418E
	v_exp_f32_e32 v143, v143                                   // 000000021230: 7F1E418F
	v_mul_f32_dpp v240, v252, v128 quad_perm:[0,0,0,0] row_mask:0xf bank_mask:0xf// 000000021234: 0BE100FA FF0000FC
	v_mul_f32_dpp v241, v252, v129 quad_perm:[1,1,1,1] row_mask:0xf bank_mask:0xf// 00000002123C: 0BE302FA FF0055FC
	v_mul_f32_dpp v242, v252, v130 quad_perm:[2,2,2,2] row_mask:0xf bank_mask:0xf// 000000021244: 0BE504FA FF00AAFC
	v_mul_f32_dpp v243, v252, v131 quad_perm:[3,3,3,3] row_mask:0xf bank_mask:0xf// 00000002124C: 0BE706FA FF00FFFC
	v_mul_f32_dpp v244, v253, v132 quad_perm:[0,0,0,0] row_mask:0xf bank_mask:0xf// 000000021254: 0BE908FA FF0000FD
	v_mul_f32_dpp v245, v253, v133 quad_perm:[1,1,1,1] row_mask:0xf bank_mask:0xf// 00000002125C: 0BEB0AFA FF0055FD
	v_mul_f32_dpp v246, v253, v134 quad_perm:[2,2,2,2] row_mask:0xf bank_mask:0xf// 000000021264: 0BED0CFA FF00AAFD
	v_mul_f32_dpp v247, v253, v135 quad_perm:[3,3,3,3] row_mask:0xf bank_mask:0xf// 00000002126C: 0BEF0EFA FF00FFFD
	v_mul_f32_dpp v248, v254, v136 quad_perm:[0,0,0,0] row_mask:0xf bank_mask:0xf// 000000021274: 0BF110FA FF0000FE
	v_mul_f32_dpp v249, v254, v137 quad_perm:[1,1,1,1] row_mask:0xf bank_mask:0xf// 00000002127C: 0BF312FA FF0055FE
	v_mul_f32_dpp v250, v254, v138 quad_perm:[2,2,2,2] row_mask:0xf bank_mask:0xf// 000000021284: 0BF514FA FF00AAFE
	v_mul_f32_dpp v251, v254, v139 quad_perm:[3,3,3,3] row_mask:0xf bank_mask:0xf// 00000002128C: 0BF716FA FF00FFFE
	v_mul_f32_dpp v252, v255, v140 quad_perm:[0,0,0,0] row_mask:0xf bank_mask:0xf// 000000021294: 0BF918FA FF0000FF
	v_mul_f32_dpp v253, v255, v141 quad_perm:[1,1,1,1] row_mask:0xf bank_mask:0xf// 00000002129C: 0BFB1AFA FF0055FF
	v_mul_f32_dpp v254, v255, v142 quad_perm:[2,2,2,2] row_mask:0xf bank_mask:0xf// 0000000212A4: 0BFD1CFA FF00AAFF
	v_mul_f32_dpp v255, v255, v143 quad_perm:[3,3,3,3] row_mask:0xf bank_mask:0xf// 0000000212AC: 0BFF1EFA FF00FFFF
	v_mov_b32_e32 v48, 0x358637bd                              // 0000000212B4: 7E6002FF 358637BD
	v_max3_f32 v48, |v240|, |v241|, v48                        // 0000000212BC: D1D30330 04C3E3F0
	v_max3_f32 v48, |v242|, |v243|, v48                        // 0000000212C4: D1D30330 04C3E7F2
	v_max3_f32 v48, |v244|, |v245|, v48                        // 0000000212CC: D1D30330 04C3EBF4
	v_max3_f32 v48, |v246|, |v247|, v48                        // 0000000212D4: D1D30330 04C3EFF6
	v_max3_f32 v48, |v248|, |v249|, v48                        // 0000000212DC: D1D30330 04C3F3F8
	v_max3_f32 v48, |v250|, |v251|, v48                        // 0000000212E4: D1D30330 04C3F7FA
	v_max3_f32 v48, |v252|, |v253|, v48                        // 0000000212EC: D1D30330 04C3FBFC
	v_max3_f32 v48, |v254|, |v255|, v48                        // 0000000212F4: D1D30330 04C3FFFE
	ds_write_b32 v8, v48 offset:20992                          // 0000000212FC: D81A5200 00003008
	v_sub_f32_e32 v50, v12, v15                                // 000000021304: 04641F0C
	v_cndmask_b32_e64 v50, v50, 0, s[40:41]                    // 000000021308: D1000032 00A10132
	v_mov_b32_e32 v12, v15                                     // 000000021310: 7E18030F
	v_mul_f32_e32 v50, s64, v50                                // 000000021314: 0A646440
	v_exp_f32_e32 v50, v50                                     // 000000021318: 7E644132
	s_waitcnt lgkmcnt(0)                                       // 00000002131C: BF8CC07F
	s_barrier                                                  // 000000021320: BF8A0000
	ds_read_b32 v64, v7 offset:20992                           // 000000021324: D86C5200 40000007
	ds_read_b32 v65, v7 offset:21056                           // 00000002132C: D86C5240 41000007
	ds_read_b32 v66, v7 offset:21120                           // 000000021334: D86C5280 42000007
	ds_read_b32 v67, v7 offset:21184                           // 00000002133C: D86C52C0 43000007
	ds_read_b32 v68, v7 offset:21248                           // 000000021344: D86C5300 44000007
	ds_read_b32 v69, v7 offset:21312                           // 00000002134C: D86C5340 45000007
	ds_read_b32 v70, v7 offset:21376                           // 000000021354: D86C5380 46000007
	ds_read_b32 v71, v7 offset:21440                           // 00000002135C: D86C53C0 47000007
	ds_read_b32 v72, v7 offset:21504                           // 000000021364: D86C5400 48000007
	ds_read_b32 v73, v7 offset:21568                           // 00000002136C: D86C5440 49000007
	ds_read_b32 v74, v7 offset:21632                           // 000000021374: D86C5480 4A000007
	ds_read_b32 v75, v7 offset:21696                           // 00000002137C: D86C54C0 4B000007
	ds_read_b32 v76, v7 offset:21760                           // 000000021384: D86C5500 4C000007
	ds_read_b32 v77, v7 offset:21824                           // 00000002138C: D86C5540 4D000007
	ds_read_b32 v78, v7 offset:21888                           // 000000021394: D86C5580 4E000007
	ds_read_b32 v79, v7 offset:21952                           // 00000002139C: D86C55C0 4F000007
	v_mul_f32_e32 v39, v50, v39                                // 0000000213A4: 0A4E4F32
	v_mov_b32_e32 v15, v128                                    // 0000000213A8: 7E1E0380
	v_add_f32_e32 v15, v129, v15                               // 0000000213AC: 021E1F81
	v_add_f32_e32 v15, v130, v15                               // 0000000213B0: 021E1F82
	v_add_f32_e32 v15, v131, v15                               // 0000000213B4: 021E1F83
	v_add_f32_e32 v15, v132, v15                               // 0000000213B8: 021E1F84
	v_add_f32_e32 v15, v133, v15                               // 0000000213BC: 021E1F85
	v_add_f32_e32 v15, v134, v15                               // 0000000213C0: 021E1F86
	v_add_f32_e32 v15, v135, v15                               // 0000000213C4: 021E1F87
	v_add_f32_e32 v15, v136, v15                               // 0000000213C8: 021E1F88
	v_add_f32_e32 v15, v137, v15                               // 0000000213CC: 021E1F89
	v_add_f32_e32 v15, v138, v15                               // 0000000213D0: 021E1F8A
	v_add_f32_e32 v15, v139, v15                               // 0000000213D4: 021E1F8B
	v_add_f32_e32 v15, v140, v15                               // 0000000213D8: 021E1F8C
	v_add_f32_e32 v15, v141, v15                               // 0000000213DC: 021E1F8D
	v_add_f32_e32 v15, v142, v15                               // 0000000213E0: 021E1F8E
	v_add_f32_e32 v15, v143, v15                               // 0000000213E4: 021E1F8F
	v_add_f32_e32 v39, v15, v39                                // 0000000213E8: 024E4F0F
	s_waitcnt lgkmcnt(0)                                       // 0000000213EC: BF8CC07F
	v_max3_f32 v48, |v64|, |v65|, v48                          // 0000000213F0: D1D30330 04C28340
	v_max3_f32 v48, |v66|, |v67|, v48                          // 0000000213F8: D1D30330 04C28742
	v_max3_f32 v48, |v68|, |v69|, v48                          // 000000021400: D1D30330 04C28B44
	v_max3_f32 v48, |v70|, |v71|, v48                          // 000000021408: D1D30330 04C28F46
	v_max3_f32 v48, |v72|, |v73|, v48                          // 000000021410: D1D30330 04C29348
	v_max3_f32 v48, |v74|, |v75|, v48                          // 000000021418: D1D30330 04C2974A
	v_max3_f32 v48, |v76|, |v77|, v48                          // 000000021420: D1D30330 04C29B4C
	v_max3_f32 v48, |v78|, |v79|, v48                          // 000000021428: D1D30330 04C29F4E
	s_nop 2                                                    // 000000021430: BF800002
	v_rcp_f32_e32 v48, v48                                     // 000000021434: 7E604530
	s_nop 1                                                    // 000000021438: BF800001
	v_mul_f32_e32 v48, 0x42fe0000, v48                         // 00000002143C: 0A6060FF 42FE0000
	v_mul_f32_e32 v128, v48, v240                              // 000000021444: 0B01E130
	v_mul_f32_e32 v129, v48, v241                              // 000000021448: 0B03E330
	v_mul_f32_e32 v130, v48, v242                              // 00000002144C: 0B05E530
	v_mul_f32_e32 v131, v48, v243                              // 000000021450: 0B07E730
	v_mul_f32_e32 v132, v48, v244                              // 000000021454: 0B09E930
	v_mul_f32_e32 v133, v48, v245                              // 000000021458: 0B0BEB30
	v_mul_f32_e32 v134, v48, v246                              // 00000002145C: 0B0DED30
	v_mul_f32_e32 v135, v48, v247                              // 000000021460: 0B0FEF30
	v_mul_f32_e32 v136, v48, v248                              // 000000021464: 0B11F130
	v_mul_f32_e32 v137, v48, v249                              // 000000021468: 0B13F330
	v_mul_f32_e32 v138, v48, v250                              // 00000002146C: 0B15F530
	v_mul_f32_e32 v139, v48, v251                              // 000000021470: 0B17F730
	v_mul_f32_e32 v140, v48, v252                              // 000000021474: 0B19F930
	v_mul_f32_e32 v141, v48, v253                              // 000000021478: 0B1BFB30
	v_mul_f32_e32 v142, v48, v254                              // 00000002147C: 0B1DFD30
	v_mul_f32_e32 v143, v48, v255                              // 000000021480: 0B1FFF30
	v_cvt_i32_f32_e32 v128, v128                               // 000000021484: 7F001180
	v_cvt_i32_f32_e32 v129, v129                               // 000000021488: 7F021181
	v_cvt_i32_f32_e32 v130, v130                               // 00000002148C: 7F041182
	v_cvt_i32_f32_e32 v131, v131                               // 000000021490: 7F061183
	v_cvt_i32_f32_e32 v132, v132                               // 000000021494: 7F081184
	v_cvt_i32_f32_e32 v133, v133                               // 000000021498: 7F0A1185
	v_cvt_i32_f32_e32 v134, v134                               // 00000002149C: 7F0C1186
	v_cvt_i32_f32_e32 v135, v135                               // 0000000214A0: 7F0E1187
	v_cvt_i32_f32_e32 v136, v136                               // 0000000214A4: 7F101188
	v_cvt_i32_f32_e32 v137, v137                               // 0000000214A8: 7F121189
	v_cvt_i32_f32_e32 v138, v138                               // 0000000214AC: 7F14118A
	v_cvt_i32_f32_e32 v139, v139                               // 0000000214B0: 7F16118B
	v_cvt_i32_f32_e32 v140, v140                               // 0000000214B4: 7F18118C
	v_cvt_i32_f32_e32 v141, v141                               // 0000000214B8: 7F1A118D
	v_cvt_i32_f32_e32 v142, v142                               // 0000000214BC: 7F1C118E
	v_cvt_i32_f32_e32 v143, v143                               // 0000000214C0: 7F1E118F
	v_perm_b32 v128, v129, v128, s53                           // 0000000214C4: D1ED0080 00D70181
	v_perm_b32 v128, v130, v128, s54                           // 0000000214CC: D1ED0080 00DB0182
	v_perm_b32 v128, v131, v128, s55                           // 0000000214D4: D1ED0080 00DF0183
	v_perm_b32 v129, v133, v132, s53                           // 0000000214DC: D1ED0081 00D70985
	v_perm_b32 v129, v134, v129, s54                           // 0000000214E4: D1ED0081 00DB0386
	v_perm_b32 v129, v135, v129, s55                           // 0000000214EC: D1ED0081 00DF0387
	v_perm_b32 v130, v137, v136, s53                           // 0000000214F4: D1ED0082 00D71189
	v_perm_b32 v130, v138, v130, s54                           // 0000000214FC: D1ED0082 00DB058A
	v_perm_b32 v130, v139, v130, s55                           // 000000021504: D1ED0082 00DF058B
	v_perm_b32 v131, v141, v140, s53                           // 00000002150C: D1ED0083 00D7198D
	v_perm_b32 v131, v142, v131, s54                           // 000000021514: D1ED0083 00DB078E
	v_perm_b32 v131, v143, v131, s55                           // 00000002151C: D1ED0083 00DF078F
	ds_write_b32 v10, v128 offset:29184                        // 000000021524: D81A7200 0000800A
	ds_write_b32 v10, v129 offset:30208                        // 00000002152C: D81A7600 0000810A
	ds_write_b32 v10, v130 offset:31232                        // 000000021534: D81A7A00 0000820A
	ds_write_b32 v10, v131 offset:32256                        // 00000002153C: D81A7E00 0000830A
	v_add_f32_e32 v216, v216, v184                             // 000000021544: 03B171D8
	v_add_f32_e32 v217, v217, v185                             // 000000021548: 03B373D9
	v_add_f32_e32 v218, v218, v186                             // 00000002154C: 03B575DA
	v_add_f32_e32 v219, v219, v187                             // 000000021550: 03B777DB
	v_add_f32_e32 v220, v220, v188                             // 000000021554: 03B979DC
	v_add_f32_e32 v221, v221, v189                             // 000000021558: 03BB7BDD
	v_add_f32_e32 v222, v222, v190                             // 00000002155C: 03BD7DDE
	v_add_f32_e32 v223, v223, v191                             // 000000021560: 03BF7FDF
	v_rcp_f32_e32 v45, v48                                     // 000000021564: 7E5A4530
	s_waitcnt lgkmcnt(0)                                       // 000000021568: BF8CC07F
	s_barrier                                                  // 00000002156C: BF8A0000
	ds_read_b64 v[128:129], v9 offset:29184                    // 000000021570: D8EC7200 80000009
	ds_read_b64 v[130:131], v9 offset:29312                    // 000000021578: D8EC7280 82000009
	ds_read_b64 v[132:133], v9 offset:30208                    // 000000021580: D8EC7600 84000009
	ds_read_b64 v[134:135], v9 offset:30336                    // 000000021588: D8EC7680 86000009
	ds_read_b64 v[136:137], v9 offset:31232                    // 000000021590: D8EC7A00 88000009
	ds_read_b64 v[138:139], v9 offset:31360                    // 000000021598: D8EC7A80 8A000009
	ds_read_b64 v[140:141], v9 offset:32256                    // 0000000215A0: D8EC7E00 8C000009
	ds_read_b64 v[142:143], v9 offset:32384                    // 0000000215A8: D8EC7E80 8E000009
	v_mov_b32_dpp v64, v42 row_shr:4 row_mask:0xf bank_mask:0xf// 0000000215B0: 7E8002FA FF01142A
	v_mov_b32_dpp v65, v42 row_shl:4 row_mask:0xf bank_mask:0xf// 0000000215B8: 7E8202FA FF01042A
	v_cndmask_b32_e64 v248, v42, v64, s[44:45]                 // 0000000215C0: D10000F8 00B2812A
	v_cndmask_b32_e64 v249, v65, v42, s[44:45]                 // 0000000215C8: D10000F9 00B25541
	v_mov_b32_dpp v64, v248 row_shr:8 row_mask:0xf bank_mask:0xf// 0000000215D0: 7E8002FA FF0118F8
	v_mov_b32_dpp v65, v248 row_shl:8 row_mask:0xf bank_mask:0xf// 0000000215D8: 7E8202FA FF0108F8
	v_mov_b32_dpp v66, v249 row_shr:8 row_mask:0xf bank_mask:0xf// 0000000215E0: 7E8402FA FF0118F9
	v_mov_b32_dpp v67, v249 row_shl:8 row_mask:0xf bank_mask:0xf// 0000000215E8: 7E8602FA FF0108F9
	v_mov_b32_e32 v68, v248                                    // 0000000215F0: 7E8803F8
	v_mov_b32_e32 v69, v249                                    // 0000000215F4: 7E8A03F9
	v_cndmask_b32_e64 v248, v68, v64, s[42:43]                 // 0000000215F8: D10000F8 00AA8144
	v_cndmask_b32_e64 v250, v68, v65, s[78:79]                 // 000000021600: D10000FA 013A8344
	v_cndmask_b32_e64 v249, v69, v66, s[42:43]                 // 000000021608: D10000F9 00AA8545
	v_cndmask_b32_e64 v251, v69, v67, s[78:79]                 // 000000021610: D10000FB 013A8745
	v_mov_b32_dpp v64, v57 row_shr:4 row_mask:0xf bank_mask:0xf// 000000021618: 7E8002FA FF011439
	v_mov_b32_dpp v65, v57 row_shl:4 row_mask:0xf bank_mask:0xf// 000000021620: 7E8202FA FF010439
	v_cndmask_b32_e64 v252, v57, v64, s[44:45]                 // 000000021628: D10000FC 00B28139
	v_cndmask_b32_e64 v253, v65, v57, s[44:45]                 // 000000021630: D10000FD 00B27341
	v_mov_b32_dpp v64, v252 row_shr:8 row_mask:0xf bank_mask:0xf// 000000021638: 7E8002FA FF0118FC
	v_mov_b32_dpp v65, v252 row_shl:8 row_mask:0xf bank_mask:0xf// 000000021640: 7E8202FA FF0108FC
	v_mov_b32_dpp v66, v253 row_shr:8 row_mask:0xf bank_mask:0xf// 000000021648: 7E8402FA FF0118FD
	v_mov_b32_dpp v67, v253 row_shl:8 row_mask:0xf bank_mask:0xf// 000000021650: 7E8602FA FF0108FD
	v_mov_b32_e32 v68, v252                                    // 000000021658: 7E8803FC
	v_mov_b32_e32 v69, v253                                    // 00000002165C: 7E8A03FD
	v_cndmask_b32_e64 v252, v68, v64, s[42:43]                 // 000000021660: D10000FC 00AA8144
	v_cndmask_b32_e64 v254, v68, v65, s[78:79]                 // 000000021668: D10000FE 013A8344
	v_cndmask_b32_e64 v253, v69, v66, s[42:43]                 // 000000021670: D10000FD 00AA8545
	v_cndmask_b32_e64 v255, v69, v67, s[78:79]                 // 000000021678: D10000FF 013A8745
	v_cvt_f32_i32_e32 v144, v144                               // 000000021680: 7F200B90
	v_cvt_f32_i32_e32 v145, v145                               // 000000021684: 7F220B91
	v_cvt_f32_i32_e32 v146, v146                               // 000000021688: 7F240B92
	v_cvt_f32_i32_e32 v147, v147                               // 00000002168C: 7F260B93
	v_cvt_f32_i32_e32 v148, v148                               // 000000021690: 7F280B94
	v_cvt_f32_i32_e32 v149, v149                               // 000000021694: 7F2A0B95
	v_cvt_f32_i32_e32 v150, v150                               // 000000021698: 7F2C0B96
	v_cvt_f32_i32_e32 v151, v151                               // 00000002169C: 7F2E0B97
	v_cvt_f32_i32_e32 v152, v152                               // 0000000216A0: 7F300B98
	v_cvt_f32_i32_e32 v153, v153                               // 0000000216A4: 7F320B99
	v_cvt_f32_i32_e32 v154, v154                               // 0000000216A8: 7F340B9A
	v_cvt_f32_i32_e32 v155, v155                               // 0000000216AC: 7F360B9B
	v_cvt_f32_i32_e32 v156, v156                               // 0000000216B0: 7F380B9C
	v_cvt_f32_i32_e32 v157, v157                               // 0000000216B4: 7F3A0B9D
	v_cvt_f32_i32_e32 v158, v158                               // 0000000216B8: 7F3C0B9E
	v_cvt_f32_i32_e32 v159, v159                               // 0000000216BC: 7F3E0B9F
	v_mul_f32_e32 v144, v20, v144                              // 0000000216C0: 0B212114
	v_mul_f32_e32 v145, v20, v145                              // 0000000216C4: 0B232314
	v_mul_f32_e32 v146, v20, v146                              // 0000000216C8: 0B252514
	v_mul_f32_e32 v147, v20, v147                              // 0000000216CC: 0B272714
	v_mul_f32_e32 v148, v20, v148                              // 0000000216D0: 0B292914
	v_mul_f32_e32 v149, v20, v149                              // 0000000216D4: 0B2B2B14
	v_mul_f32_e32 v150, v20, v150                              // 0000000216D8: 0B2D2D14
	v_mul_f32_e32 v151, v20, v151                              // 0000000216DC: 0B2F2F14
	v_mul_f32_e32 v152, v20, v152                              // 0000000216E0: 0B313114
	v_mul_f32_e32 v153, v20, v153                              // 0000000216E4: 0B333314
	v_mul_f32_e32 v154, v20, v154                              // 0000000216E8: 0B353514
	v_mul_f32_e32 v155, v20, v155                              // 0000000216EC: 0B373714
	v_mul_f32_e32 v156, v20, v156                              // 0000000216F0: 0B393914
	v_mul_f32_e32 v157, v20, v157                              // 0000000216F4: 0B3B3B14
	v_mul_f32_e32 v158, v20, v158                              // 0000000216F8: 0B3D3D14
	v_mul_f32_e32 v159, v20, v159                              // 0000000216FC: 0B3F3F14
	v_mul_f32_dpp v144, v248, v144 quad_perm:[0,0,0,0] row_mask:0xf bank_mask:0xf// 000000021700: 0B2120FA FF0000F8
	v_mul_f32_dpp v145, v248, v145 quad_perm:[1,1,1,1] row_mask:0xf bank_mask:0xf// 000000021708: 0B2322FA FF0055F8
	v_mul_f32_dpp v146, v248, v146 quad_perm:[2,2,2,2] row_mask:0xf bank_mask:0xf// 000000021710: 0B2524FA FF00AAF8
	v_mul_f32_dpp v147, v248, v147 quad_perm:[3,3,3,3] row_mask:0xf bank_mask:0xf// 000000021718: 0B2726FA FF00FFF8
	v_mul_f32_dpp v148, v249, v148 quad_perm:[0,0,0,0] row_mask:0xf bank_mask:0xf// 000000021720: 0B2928FA FF0000F9
	v_mul_f32_dpp v149, v249, v149 quad_perm:[1,1,1,1] row_mask:0xf bank_mask:0xf// 000000021728: 0B2B2AFA FF0055F9
	v_mul_f32_dpp v150, v249, v150 quad_perm:[2,2,2,2] row_mask:0xf bank_mask:0xf// 000000021730: 0B2D2CFA FF00AAF9
	v_mul_f32_dpp v151, v249, v151 quad_perm:[3,3,3,3] row_mask:0xf bank_mask:0xf// 000000021738: 0B2F2EFA FF00FFF9
	v_mul_f32_dpp v152, v250, v152 quad_perm:[0,0,0,0] row_mask:0xf bank_mask:0xf// 000000021740: 0B3130FA FF0000FA
	v_mul_f32_dpp v153, v250, v153 quad_perm:[1,1,1,1] row_mask:0xf bank_mask:0xf// 000000021748: 0B3332FA FF0055FA
	v_mul_f32_dpp v154, v250, v154 quad_perm:[2,2,2,2] row_mask:0xf bank_mask:0xf// 000000021750: 0B3534FA FF00AAFA
	v_mul_f32_dpp v155, v250, v155 quad_perm:[3,3,3,3] row_mask:0xf bank_mask:0xf// 000000021758: 0B3736FA FF00FFFA
	v_mul_f32_dpp v156, v251, v156 quad_perm:[0,0,0,0] row_mask:0xf bank_mask:0xf// 000000021760: 0B3938FA FF0000FB
	v_mul_f32_dpp v157, v251, v157 quad_perm:[1,1,1,1] row_mask:0xf bank_mask:0xf// 000000021768: 0B3B3AFA FF0055FB
	v_mul_f32_dpp v158, v251, v158 quad_perm:[2,2,2,2] row_mask:0xf bank_mask:0xf// 000000021770: 0B3D3CFA FF00AAFB
	v_mul_f32_dpp v159, v251, v159 quad_perm:[3,3,3,3] row_mask:0xf bank_mask:0xf// 000000021778: 0B3F3EFA FF00FFFB
	v_mov_b32_e32 v48, v144                                    // 000000021780: 7E600390
	v_max3_f32 v48, v144, v145, v48                            // 000000021784: D1D30030 04C32390
	v_max3_f32 v48, v146, v147, v48                            // 00000002178C: D1D30030 04C32792
	v_max3_f32 v48, v148, v149, v48                            // 000000021794: D1D30030 04C32B94
	v_max3_f32 v48, v150, v151, v48                            // 00000002179C: D1D30030 04C32F96
	v_max3_f32 v48, v152, v153, v48                            // 0000000217A4: D1D30030 04C33398
	v_max3_f32 v48, v154, v155, v48                            // 0000000217AC: D1D30030 04C3379A
	v_max3_f32 v48, v156, v157, v48                            // 0000000217B4: D1D30030 04C33B9C
	v_max3_f32 v48, v158, v159, v48                            // 0000000217BC: D1D30030 04C33F9E
	ds_write_b32 v8, v48 offset:16896                          // 0000000217C4: D81A4200 00003008
	v_mul_f32_e32 v224, v51, v224                              // 0000000217CC: 0BC1C133
	v_mul_f32_e32 v225, v51, v225                              // 0000000217D0: 0BC3C333
	v_mul_f32_e32 v226, v51, v226                              // 0000000217D4: 0BC5C533
	v_mul_f32_e32 v227, v51, v227                              // 0000000217D8: 0BC7C733
	v_mul_f32_e32 v228, v51, v228                              // 0000000217DC: 0BC9C933
	v_mul_f32_e32 v229, v51, v229                              // 0000000217E0: 0BCBCB33
	v_mul_f32_e32 v230, v51, v230                              // 0000000217E4: 0BCDCD33
	v_mul_f32_e32 v231, v51, v231                              // 0000000217E8: 0BCFCF33
	s_waitcnt lgkmcnt(0)                                       // 0000000217EC: BF8CC07F
	s_barrier                                                  // 0000000217F0: BF8A0000
	ds_read_b32 v64, v7 offset:16896                           // 0000000217F4: D86C4200 40000007
	ds_read_b32 v65, v7 offset:16960                           // 0000000217FC: D86C4240 41000007
	ds_read_b32 v66, v7 offset:17024                           // 000000021804: D86C4280 42000007
	ds_read_b32 v67, v7 offset:17088                           // 00000002180C: D86C42C0 43000007
	ds_read_b32 v68, v7 offset:17152                           // 000000021814: D86C4300 44000007
	ds_read_b32 v69, v7 offset:17216                           // 00000002181C: D86C4340 45000007
	ds_read_b32 v70, v7 offset:17280                           // 000000021824: D86C4380 46000007
	ds_read_b32 v71, v7 offset:17344                           // 00000002182C: D86C43C0 47000007
	ds_read_b32 v72, v7 offset:17408                           // 000000021834: D86C4400 48000007
	ds_read_b32 v73, v7 offset:17472                           // 00000002183C: D86C4440 49000007
	ds_read_b32 v74, v7 offset:17536                           // 000000021844: D86C4480 4A000007
	ds_read_b32 v75, v7 offset:17600                           // 00000002184C: D86C44C0 4B000007
	ds_read_b32 v76, v7 offset:17664                           // 000000021854: D86C4500 4C000007
	ds_read_b32 v77, v7 offset:17728                           // 00000002185C: D86C4540 4D000007
	ds_read_b32 v78, v7 offset:17792                           // 000000021864: D86C4580 4E000007
	ds_read_b32 v79, v7 offset:17856                           // 00000002186C: D86C45C0 4F000007
	v_cvt_f32_i32_e32 v192, v192                               // 000000021874: 7F800BC0
	v_cvt_f32_i32_e32 v193, v193                               // 000000021878: 7F820BC1
	v_cvt_f32_i32_e32 v194, v194                               // 00000002187C: 7F840BC2
	v_cvt_f32_i32_e32 v195, v195                               // 000000021880: 7F860BC3
	v_cvt_f32_i32_e32 v196, v196                               // 000000021884: 7F880BC4
	v_cvt_f32_i32_e32 v197, v197                               // 000000021888: 7F8A0BC5
	v_cvt_f32_i32_e32 v198, v198                               // 00000002188C: 7F8C0BC6
	v_cvt_f32_i32_e32 v199, v199                               // 000000021890: 7F8E0BC7
	v_mul_f32_e32 v192, v46, v192                              // 000000021894: 0B81812E
	v_mul_f32_e32 v193, v46, v193                              // 000000021898: 0B83832E
	v_mul_f32_e32 v194, v46, v194                              // 00000002189C: 0B85852E
	v_mul_f32_e32 v195, v46, v195                              // 0000000218A0: 0B87872E
	v_mul_f32_e32 v196, v46, v196                              // 0000000218A4: 0B89892E
	v_mul_f32_e32 v197, v46, v197                              // 0000000218A8: 0B8B8B2E
	v_mul_f32_e32 v198, v46, v198                              // 0000000218AC: 0B8D8D2E
	v_mul_f32_e32 v199, v46, v199                              // 0000000218B0: 0B8F8F2E
	s_waitcnt lgkmcnt(0)                                       // 0000000218B4: BF8CC07F
	v_max3_f32 v48, v64, v65, v48                              // 0000000218B8: D1D30030 04C28340
	v_max3_f32 v48, v66, v67, v48                              // 0000000218C0: D1D30030 04C28742
	v_max3_f32 v48, v68, v69, v48                              // 0000000218C8: D1D30030 04C28B44
	v_max3_f32 v48, v70, v71, v48                              // 0000000218D0: D1D30030 04C28F46
	v_max3_f32 v48, v72, v73, v48                              // 0000000218D8: D1D30030 04C29348
	v_max3_f32 v48, v74, v75, v48                              // 0000000218E0: D1D30030 04C2974A
	v_max3_f32 v48, v76, v77, v48                              // 0000000218E8: D1D30030 04C29B4C
	v_max3_f32 v48, v78, v79, v48                              // 0000000218F0: D1D30030 04C29F4E
	v_mov_b32_e32 v64, 0xff800000                              // 0000000218F8: 7E8002FF FF800000
	v_cmp_eq_u32_e64 s[40:41], v64, v13                        // 000000021900: D0CA0028 00021B40
	s_nop 1                                                    // 000000021908: BF800001
	v_max_f32_e32 v15, v48, v13                                // 00000002190C: 161E1B30
	v_mul_f32_e32 v53, s64, v15                                // 000000021910: 0A6A1E40
	v_fma_f32 v144, v144, s64, -v53                            // 000000021914: D1CB0090 84D48190
	v_fma_f32 v145, v145, s64, -v53                            // 00000002191C: D1CB0091 84D48191
	v_fma_f32 v146, v146, s64, -v53                            // 000000021924: D1CB0092 84D48192
	v_fma_f32 v147, v147, s64, -v53                            // 00000002192C: D1CB0093 84D48193
	v_fma_f32 v148, v148, s64, -v53                            // 000000021934: D1CB0094 84D48194
	v_fma_f32 v149, v149, s64, -v53                            // 00000002193C: D1CB0095 84D48195
	v_fma_f32 v150, v150, s64, -v53                            // 000000021944: D1CB0096 84D48196
	v_fma_f32 v151, v151, s64, -v53                            // 00000002194C: D1CB0097 84D48197
	v_fma_f32 v152, v152, s64, -v53                            // 000000021954: D1CB0098 84D48198
	v_fma_f32 v153, v153, s64, -v53                            // 00000002195C: D1CB0099 84D48199
	v_fma_f32 v154, v154, s64, -v53                            // 000000021964: D1CB009A 84D4819A
	v_fma_f32 v155, v155, s64, -v53                            // 00000002196C: D1CB009B 84D4819B
	v_fma_f32 v156, v156, s64, -v53                            // 000000021974: D1CB009C 84D4819C
	v_fma_f32 v157, v157, s64, -v53                            // 00000002197C: D1CB009D 84D4819D
	v_fma_f32 v158, v158, s64, -v53                            // 000000021984: D1CB009E 84D4819E
	v_fma_f32 v159, v159, s64, -v53                            // 00000002198C: D1CB009F 84D4819F
	v_exp_f32_e32 v144, v144                                   // 000000021994: 7F204190
	v_exp_f32_e32 v145, v145                                   // 000000021998: 7F224191
	v_exp_f32_e32 v146, v146                                   // 00000002199C: 7F244192
	v_exp_f32_e32 v147, v147                                   // 0000000219A0: 7F264193
	v_exp_f32_e32 v148, v148                                   // 0000000219A4: 7F284194
	v_exp_f32_e32 v149, v149                                   // 0000000219A8: 7F2A4195
	v_exp_f32_e32 v150, v150                                   // 0000000219AC: 7F2C4196
	v_exp_f32_e32 v151, v151                                   // 0000000219B0: 7F2E4197
	v_exp_f32_e32 v152, v152                                   // 0000000219B4: 7F304198
	v_exp_f32_e32 v153, v153                                   // 0000000219B8: 7F324199
	v_exp_f32_e32 v154, v154                                   // 0000000219BC: 7F34419A
	v_exp_f32_e32 v155, v155                                   // 0000000219C0: 7F36419B
	v_exp_f32_e32 v156, v156                                   // 0000000219C4: 7F38419C
	v_exp_f32_e32 v157, v157                                   // 0000000219C8: 7F3A419D
	v_exp_f32_e32 v158, v158                                   // 0000000219CC: 7F3C419E
	v_exp_f32_e32 v159, v159                                   // 0000000219D0: 7F3E419F
	v_mul_f32_dpp v240, v252, v144 quad_perm:[0,0,0,0] row_mask:0xf bank_mask:0xf// 0000000219D4: 0BE120FA FF0000FC
	v_mul_f32_dpp v241, v252, v145 quad_perm:[1,1,1,1] row_mask:0xf bank_mask:0xf// 0000000219DC: 0BE322FA FF0055FC
	v_mul_f32_dpp v242, v252, v146 quad_perm:[2,2,2,2] row_mask:0xf bank_mask:0xf// 0000000219E4: 0BE524FA FF00AAFC
	v_mul_f32_dpp v243, v252, v147 quad_perm:[3,3,3,3] row_mask:0xf bank_mask:0xf// 0000000219EC: 0BE726FA FF00FFFC
	v_mul_f32_dpp v244, v253, v148 quad_perm:[0,0,0,0] row_mask:0xf bank_mask:0xf// 0000000219F4: 0BE928FA FF0000FD
	v_mul_f32_dpp v245, v253, v149 quad_perm:[1,1,1,1] row_mask:0xf bank_mask:0xf// 0000000219FC: 0BEB2AFA FF0055FD
	v_mul_f32_dpp v246, v253, v150 quad_perm:[2,2,2,2] row_mask:0xf bank_mask:0xf// 000000021A04: 0BED2CFA FF00AAFD
	v_mul_f32_dpp v247, v253, v151 quad_perm:[3,3,3,3] row_mask:0xf bank_mask:0xf// 000000021A0C: 0BEF2EFA FF00FFFD
	v_mul_f32_dpp v248, v254, v152 quad_perm:[0,0,0,0] row_mask:0xf bank_mask:0xf// 000000021A14: 0BF130FA FF0000FE
	v_mul_f32_dpp v249, v254, v153 quad_perm:[1,1,1,1] row_mask:0xf bank_mask:0xf// 000000021A1C: 0BF332FA FF0055FE
	v_mul_f32_dpp v250, v254, v154 quad_perm:[2,2,2,2] row_mask:0xf bank_mask:0xf// 000000021A24: 0BF534FA FF00AAFE
	v_mul_f32_dpp v251, v254, v155 quad_perm:[3,3,3,3] row_mask:0xf bank_mask:0xf// 000000021A2C: 0BF736FA FF00FFFE
	v_mul_f32_dpp v252, v255, v156 quad_perm:[0,0,0,0] row_mask:0xf bank_mask:0xf// 000000021A34: 0BF938FA FF0000FF
	v_mul_f32_dpp v253, v255, v157 quad_perm:[1,1,1,1] row_mask:0xf bank_mask:0xf// 000000021A3C: 0BFB3AFA FF0055FF
	v_mul_f32_dpp v254, v255, v158 quad_perm:[2,2,2,2] row_mask:0xf bank_mask:0xf// 000000021A44: 0BFD3CFA FF00AAFF
	v_mul_f32_dpp v255, v255, v159 quad_perm:[3,3,3,3] row_mask:0xf bank_mask:0xf// 000000021A4C: 0BFF3EFA FF00FFFF
	v_mov_b32_e32 v48, 0x358637bd                              // 000000021A54: 7E6002FF 358637BD
	v_max3_f32 v48, |v240|, |v241|, v48                        // 000000021A5C: D1D30330 04C3E3F0
	v_max3_f32 v48, |v242|, |v243|, v48                        // 000000021A64: D1D30330 04C3E7F2
	v_max3_f32 v48, |v244|, |v245|, v48                        // 000000021A6C: D1D30330 04C3EBF4
	v_max3_f32 v48, |v246|, |v247|, v48                        // 000000021A74: D1D30330 04C3EFF6
	v_max3_f32 v48, |v248|, |v249|, v48                        // 000000021A7C: D1D30330 04C3F3F8
	v_max3_f32 v48, |v250|, |v251|, v48                        // 000000021A84: D1D30330 04C3F7FA
	v_max3_f32 v48, |v252|, |v253|, v48                        // 000000021A8C: D1D30330 04C3FBFC
	v_max3_f32 v48, |v254|, |v255|, v48                        // 000000021A94: D1D30330 04C3FFFE
	ds_write_b32 v8, v48 offset:20992                          // 000000021A9C: D81A5200 00003008
	v_sub_f32_e32 v51, v13, v15                                // 000000021AA4: 04661F0D
	v_cndmask_b32_e64 v51, v51, 0, s[40:41]                    // 000000021AA8: D1000033 00A10133
	v_mov_b32_e32 v13, v15                                     // 000000021AB0: 7E1A030F
	v_mul_f32_e32 v51, s64, v51                                // 000000021AB4: 0A666640
	v_exp_f32_e32 v51, v51                                     // 000000021AB8: 7E664133
	s_waitcnt lgkmcnt(0)                                       // 000000021ABC: BF8CC07F
	s_barrier                                                  // 000000021AC0: BF8A0000
	ds_read_b32 v64, v7 offset:20992                           // 000000021AC4: D86C5200 40000007
	ds_read_b32 v65, v7 offset:21056                           // 000000021ACC: D86C5240 41000007
	ds_read_b32 v66, v7 offset:21120                           // 000000021AD4: D86C5280 42000007
	ds_read_b32 v67, v7 offset:21184                           // 000000021ADC: D86C52C0 43000007
	ds_read_b32 v68, v7 offset:21248                           // 000000021AE4: D86C5300 44000007
	ds_read_b32 v69, v7 offset:21312                           // 000000021AEC: D86C5340 45000007
	ds_read_b32 v70, v7 offset:21376                           // 000000021AF4: D86C5380 46000007
	ds_read_b32 v71, v7 offset:21440                           // 000000021AFC: D86C53C0 47000007
	ds_read_b32 v72, v7 offset:21504                           // 000000021B04: D86C5400 48000007
	ds_read_b32 v73, v7 offset:21568                           // 000000021B0C: D86C5440 49000007
	ds_read_b32 v74, v7 offset:21632                           // 000000021B14: D86C5480 4A000007
	ds_read_b32 v75, v7 offset:21696                           // 000000021B1C: D86C54C0 4B000007
	ds_read_b32 v76, v7 offset:21760                           // 000000021B24: D86C5500 4C000007
	ds_read_b32 v77, v7 offset:21824                           // 000000021B2C: D86C5540 4D000007
	ds_read_b32 v78, v7 offset:21888                           // 000000021B34: D86C5580 4E000007
	ds_read_b32 v79, v7 offset:21952                           // 000000021B3C: D86C55C0 4F000007
	v_mul_f32_e32 v40, v51, v40                                // 000000021B44: 0A505133
	v_mov_b32_e32 v15, v144                                    // 000000021B48: 7E1E0390
	v_add_f32_e32 v15, v145, v15                               // 000000021B4C: 021E1F91
	v_add_f32_e32 v15, v146, v15                               // 000000021B50: 021E1F92
	v_add_f32_e32 v15, v147, v15                               // 000000021B54: 021E1F93
	v_add_f32_e32 v15, v148, v15                               // 000000021B58: 021E1F94
	v_add_f32_e32 v15, v149, v15                               // 000000021B5C: 021E1F95
	v_add_f32_e32 v15, v150, v15                               // 000000021B60: 021E1F96
	v_add_f32_e32 v15, v151, v15                               // 000000021B64: 021E1F97
	v_add_f32_e32 v15, v152, v15                               // 000000021B68: 021E1F98
	v_add_f32_e32 v15, v153, v15                               // 000000021B6C: 021E1F99
	v_add_f32_e32 v15, v154, v15                               // 000000021B70: 021E1F9A
	v_add_f32_e32 v15, v155, v15                               // 000000021B74: 021E1F9B
	v_add_f32_e32 v15, v156, v15                               // 000000021B78: 021E1F9C
	v_add_f32_e32 v15, v157, v15                               // 000000021B7C: 021E1F9D
	v_add_f32_e32 v15, v158, v15                               // 000000021B80: 021E1F9E
	v_add_f32_e32 v15, v159, v15                               // 000000021B84: 021E1F9F
	v_add_f32_e32 v40, v15, v40                                // 000000021B88: 0250510F
	s_waitcnt lgkmcnt(0)                                       // 000000021B8C: BF8CC07F
	v_max3_f32 v48, |v64|, |v65|, v48                          // 000000021B90: D1D30330 04C28340
	v_max3_f32 v48, |v66|, |v67|, v48                          // 000000021B98: D1D30330 04C28742
	v_max3_f32 v48, |v68|, |v69|, v48                          // 000000021BA0: D1D30330 04C28B44
	v_max3_f32 v48, |v70|, |v71|, v48                          // 000000021BA8: D1D30330 04C28F46
	v_max3_f32 v48, |v72|, |v73|, v48                          // 000000021BB0: D1D30330 04C29348
	v_max3_f32 v48, |v74|, |v75|, v48                          // 000000021BB8: D1D30330 04C2974A
	v_max3_f32 v48, |v76|, |v77|, v48                          // 000000021BC0: D1D30330 04C29B4C
	v_max3_f32 v48, |v78|, |v79|, v48                          // 000000021BC8: D1D30330 04C29F4E
	s_nop 2                                                    // 000000021BD0: BF800002
	v_rcp_f32_e32 v48, v48                                     // 000000021BD4: 7E604530
	s_nop 1                                                    // 000000021BD8: BF800001
	v_mul_f32_e32 v48, 0x42fe0000, v48                         // 000000021BDC: 0A6060FF 42FE0000
	v_mul_f32_e32 v144, v48, v240                              // 000000021BE4: 0B21E130
	v_mul_f32_e32 v145, v48, v241                              // 000000021BE8: 0B23E330
	v_mul_f32_e32 v146, v48, v242                              // 000000021BEC: 0B25E530
	v_mul_f32_e32 v147, v48, v243                              // 000000021BF0: 0B27E730
	v_mul_f32_e32 v148, v48, v244                              // 000000021BF4: 0B29E930
	v_mul_f32_e32 v149, v48, v245                              // 000000021BF8: 0B2BEB30
	v_mul_f32_e32 v150, v48, v246                              // 000000021BFC: 0B2DED30
	v_mul_f32_e32 v151, v48, v247                              // 000000021C00: 0B2FEF30
	v_mul_f32_e32 v152, v48, v248                              // 000000021C04: 0B31F130
	v_mul_f32_e32 v153, v48, v249                              // 000000021C08: 0B33F330
	v_mul_f32_e32 v154, v48, v250                              // 000000021C0C: 0B35F530
	v_mul_f32_e32 v155, v48, v251                              // 000000021C10: 0B37F730
	v_mul_f32_e32 v156, v48, v252                              // 000000021C14: 0B39F930
	v_mul_f32_e32 v157, v48, v253                              // 000000021C18: 0B3BFB30
	v_mul_f32_e32 v158, v48, v254                              // 000000021C1C: 0B3DFD30
	v_mul_f32_e32 v159, v48, v255                              // 000000021C20: 0B3FFF30
	v_cvt_i32_f32_e32 v144, v144                               // 000000021C24: 7F201190
	v_cvt_i32_f32_e32 v145, v145                               // 000000021C28: 7F221191
	v_cvt_i32_f32_e32 v146, v146                               // 000000021C2C: 7F241192
	v_cvt_i32_f32_e32 v147, v147                               // 000000021C30: 7F261193
	v_cvt_i32_f32_e32 v148, v148                               // 000000021C34: 7F281194
	v_cvt_i32_f32_e32 v149, v149                               // 000000021C38: 7F2A1195
	v_cvt_i32_f32_e32 v150, v150                               // 000000021C3C: 7F2C1196
	v_cvt_i32_f32_e32 v151, v151                               // 000000021C40: 7F2E1197
	v_cvt_i32_f32_e32 v152, v152                               // 000000021C44: 7F301198
	v_cvt_i32_f32_e32 v153, v153                               // 000000021C48: 7F321199
	v_cvt_i32_f32_e32 v154, v154                               // 000000021C4C: 7F34119A
	v_cvt_i32_f32_e32 v155, v155                               // 000000021C50: 7F36119B
	v_cvt_i32_f32_e32 v156, v156                               // 000000021C54: 7F38119C
	v_cvt_i32_f32_e32 v157, v157                               // 000000021C58: 7F3A119D
	v_cvt_i32_f32_e32 v158, v158                               // 000000021C5C: 7F3C119E
	v_cvt_i32_f32_e32 v159, v159                               // 000000021C60: 7F3E119F
	v_perm_b32 v144, v145, v144, s53                           // 000000021C64: D1ED0090 00D72191
	v_perm_b32 v144, v146, v144, s54                           // 000000021C6C: D1ED0090 00DB2192
	v_perm_b32 v144, v147, v144, s55                           // 000000021C74: D1ED0090 00DF2193
	v_perm_b32 v145, v149, v148, s53                           // 000000021C7C: D1ED0091 00D72995
	v_perm_b32 v145, v150, v145, s54                           // 000000021C84: D1ED0091 00DB2396
	v_perm_b32 v145, v151, v145, s55                           // 000000021C8C: D1ED0091 00DF2397
	v_perm_b32 v146, v153, v152, s53                           // 000000021C94: D1ED0092 00D73199
	v_perm_b32 v146, v154, v146, s54                           // 000000021C9C: D1ED0092 00DB259A
	v_perm_b32 v146, v155, v146, s55                           // 000000021CA4: D1ED0092 00DF259B
	v_perm_b32 v147, v157, v156, s53                           // 000000021CAC: D1ED0093 00D7399D
	v_perm_b32 v147, v158, v147, s54                           // 000000021CB4: D1ED0093 00DB279E
	v_perm_b32 v147, v159, v147, s55                           // 000000021CBC: D1ED0093 00DF279F
	ds_write_b32 v10, v144 offset:33280                        // 000000021CC4: D81A8200 0000900A
	ds_write_b32 v10, v145 offset:34304                        // 000000021CCC: D81A8600 0000910A
	ds_write_b32 v10, v146 offset:35328                        // 000000021CD4: D81A8A00 0000920A
	ds_write_b32 v10, v147 offset:36352                        // 000000021CDC: D81A8E00 0000930A
	v_add_f32_e32 v224, v224, v192                             // 000000021CE4: 03C181E0
	v_add_f32_e32 v225, v225, v193                             // 000000021CE8: 03C383E1
	v_add_f32_e32 v226, v226, v194                             // 000000021CEC: 03C585E2
	v_add_f32_e32 v227, v227, v195                             // 000000021CF0: 03C787E3
	v_add_f32_e32 v228, v228, v196                             // 000000021CF4: 03C989E4
	v_add_f32_e32 v229, v229, v197                             // 000000021CF8: 03CB8BE5
	v_add_f32_e32 v230, v230, v198                             // 000000021CFC: 03CD8DE6
	v_add_f32_e32 v231, v231, v199                             // 000000021D00: 03CF8FE7
	v_rcp_f32_e32 v46, v48                                     // 000000021D04: 7E5C4530
	s_waitcnt lgkmcnt(0)                                       // 000000021D08: BF8CC07F
	s_barrier                                                  // 000000021D0C: BF8A0000
	ds_read_b64 v[144:145], v9 offset:33280                    // 000000021D10: D8EC8200 90000009
	ds_read_b64 v[146:147], v9 offset:33408                    // 000000021D18: D8EC8280 92000009
	ds_read_b64 v[148:149], v9 offset:34304                    // 000000021D20: D8EC8600 94000009
	ds_read_b64 v[150:151], v9 offset:34432                    // 000000021D28: D8EC8680 96000009
	ds_read_b64 v[152:153], v9 offset:35328                    // 000000021D30: D8EC8A00 98000009
	ds_read_b64 v[154:155], v9 offset:35456                    // 000000021D38: D8EC8A80 9A000009
	ds_read_b64 v[156:157], v9 offset:36352                    // 000000021D40: D8EC8E00 9C000009
	ds_read_b64 v[158:159], v9 offset:36480                    // 000000021D48: D8EC8E80 9E000009
	v_mov_b32_dpp v64, v42 row_shr:4 row_mask:0xf bank_mask:0xf// 000000021D50: 7E8002FA FF01142A
	v_mov_b32_dpp v65, v42 row_shl:4 row_mask:0xf bank_mask:0xf// 000000021D58: 7E8202FA FF01042A
	v_cndmask_b32_e64 v248, v42, v64, s[44:45]                 // 000000021D60: D10000F8 00B2812A
	v_cndmask_b32_e64 v249, v65, v42, s[44:45]                 // 000000021D68: D10000F9 00B25541
	v_mov_b32_dpp v64, v248 row_shr:8 row_mask:0xf bank_mask:0xf// 000000021D70: 7E8002FA FF0118F8
	v_mov_b32_dpp v65, v248 row_shl:8 row_mask:0xf bank_mask:0xf// 000000021D78: 7E8202FA FF0108F8
	v_mov_b32_dpp v66, v249 row_shr:8 row_mask:0xf bank_mask:0xf// 000000021D80: 7E8402FA FF0118F9
	v_mov_b32_dpp v67, v249 row_shl:8 row_mask:0xf bank_mask:0xf// 000000021D88: 7E8602FA FF0108F9
	v_mov_b32_e32 v68, v248                                    // 000000021D90: 7E8803F8
	v_mov_b32_e32 v69, v249                                    // 000000021D94: 7E8A03F9
	v_cndmask_b32_e64 v248, v68, v64, s[42:43]                 // 000000021D98: D10000F8 00AA8144
	v_cndmask_b32_e64 v250, v68, v65, s[78:79]                 // 000000021DA0: D10000FA 013A8344
	v_cndmask_b32_e64 v249, v69, v66, s[42:43]                 // 000000021DA8: D10000F9 00AA8545
	v_cndmask_b32_e64 v251, v69, v67, s[78:79]                 // 000000021DB0: D10000FB 013A8745
	v_mov_b32_dpp v64, v57 row_shr:4 row_mask:0xf bank_mask:0xf// 000000021DB8: 7E8002FA FF011439
	v_mov_b32_dpp v65, v57 row_shl:4 row_mask:0xf bank_mask:0xf// 000000021DC0: 7E8202FA FF010439
	v_cndmask_b32_e64 v252, v57, v64, s[44:45]                 // 000000021DC8: D10000FC 00B28139
	v_cndmask_b32_e64 v253, v65, v57, s[44:45]                 // 000000021DD0: D10000FD 00B27341
	v_mov_b32_dpp v64, v252 row_shr:8 row_mask:0xf bank_mask:0xf// 000000021DD8: 7E8002FA FF0118FC
	v_mov_b32_dpp v65, v252 row_shl:8 row_mask:0xf bank_mask:0xf// 000000021DE0: 7E8202FA FF0108FC
	v_mov_b32_dpp v66, v253 row_shr:8 row_mask:0xf bank_mask:0xf// 000000021DE8: 7E8402FA FF0118FD
	v_mov_b32_dpp v67, v253 row_shl:8 row_mask:0xf bank_mask:0xf// 000000021DF0: 7E8602FA FF0108FD
	v_mov_b32_e32 v68, v252                                    // 000000021DF8: 7E8803FC
	v_mov_b32_e32 v69, v253                                    // 000000021DFC: 7E8A03FD
	v_cndmask_b32_e64 v252, v68, v64, s[42:43]                 // 000000021E00: D10000FC 00AA8144
	v_cndmask_b32_e64 v254, v68, v65, s[78:79]                 // 000000021E08: D10000FE 013A8344
	v_cndmask_b32_e64 v253, v69, v66, s[42:43]                 // 000000021E10: D10000FD 00AA8545
	v_cndmask_b32_e64 v255, v69, v67, s[78:79]                 // 000000021E18: D10000FF 013A8745
	v_cvt_f32_i32_e32 v160, v160                               // 000000021E20: 7F400BA0
	v_cvt_f32_i32_e32 v161, v161                               // 000000021E24: 7F420BA1
	v_cvt_f32_i32_e32 v162, v162                               // 000000021E28: 7F440BA2
	v_cvt_f32_i32_e32 v163, v163                               // 000000021E2C: 7F460BA3
	v_cvt_f32_i32_e32 v164, v164                               // 000000021E30: 7F480BA4
	v_cvt_f32_i32_e32 v165, v165                               // 000000021E34: 7F4A0BA5
	v_cvt_f32_i32_e32 v166, v166                               // 000000021E38: 7F4C0BA6
	v_cvt_f32_i32_e32 v167, v167                               // 000000021E3C: 7F4E0BA7
	v_cvt_f32_i32_e32 v168, v168                               // 000000021E40: 7F500BA8
	v_cvt_f32_i32_e32 v169, v169                               // 000000021E44: 7F520BA9
	v_cvt_f32_i32_e32 v170, v170                               // 000000021E48: 7F540BAA
	v_cvt_f32_i32_e32 v171, v171                               // 000000021E4C: 7F560BAB
	v_cvt_f32_i32_e32 v172, v172                               // 000000021E50: 7F580BAC
	v_cvt_f32_i32_e32 v173, v173                               // 000000021E54: 7F5A0BAD
	v_cvt_f32_i32_e32 v174, v174                               // 000000021E58: 7F5C0BAE
	v_cvt_f32_i32_e32 v175, v175                               // 000000021E5C: 7F5E0BAF
	v_mul_f32_e32 v160, v21, v160                              // 000000021E60: 0B414115
	v_mul_f32_e32 v161, v21, v161                              // 000000021E64: 0B434315
	v_mul_f32_e32 v162, v21, v162                              // 000000021E68: 0B454515
	v_mul_f32_e32 v163, v21, v163                              // 000000021E6C: 0B474715
	v_mul_f32_e32 v164, v21, v164                              // 000000021E70: 0B494915
	v_mul_f32_e32 v165, v21, v165                              // 000000021E74: 0B4B4B15
	v_mul_f32_e32 v166, v21, v166                              // 000000021E78: 0B4D4D15
	v_mul_f32_e32 v167, v21, v167                              // 000000021E7C: 0B4F4F15
	v_mul_f32_e32 v168, v21, v168                              // 000000021E80: 0B515115
	v_mul_f32_e32 v169, v21, v169                              // 000000021E84: 0B535315
	v_mul_f32_e32 v170, v21, v170                              // 000000021E88: 0B555515
	v_mul_f32_e32 v171, v21, v171                              // 000000021E8C: 0B575715
	v_mul_f32_e32 v172, v21, v172                              // 000000021E90: 0B595915
	v_mul_f32_e32 v173, v21, v173                              // 000000021E94: 0B5B5B15
	v_mul_f32_e32 v174, v21, v174                              // 000000021E98: 0B5D5D15
	v_mul_f32_e32 v175, v21, v175                              // 000000021E9C: 0B5F5F15
	v_mul_f32_dpp v160, v248, v160 quad_perm:[0,0,0,0] row_mask:0xf bank_mask:0xf// 000000021EA0: 0B4140FA FF0000F8
	v_mul_f32_dpp v161, v248, v161 quad_perm:[1,1,1,1] row_mask:0xf bank_mask:0xf// 000000021EA8: 0B4342FA FF0055F8
	v_mul_f32_dpp v162, v248, v162 quad_perm:[2,2,2,2] row_mask:0xf bank_mask:0xf// 000000021EB0: 0B4544FA FF00AAF8
	v_mul_f32_dpp v163, v248, v163 quad_perm:[3,3,3,3] row_mask:0xf bank_mask:0xf// 000000021EB8: 0B4746FA FF00FFF8
	v_mul_f32_dpp v164, v249, v164 quad_perm:[0,0,0,0] row_mask:0xf bank_mask:0xf// 000000021EC0: 0B4948FA FF0000F9
	v_mul_f32_dpp v165, v249, v165 quad_perm:[1,1,1,1] row_mask:0xf bank_mask:0xf// 000000021EC8: 0B4B4AFA FF0055F9
	v_mul_f32_dpp v166, v249, v166 quad_perm:[2,2,2,2] row_mask:0xf bank_mask:0xf// 000000021ED0: 0B4D4CFA FF00AAF9
	v_mul_f32_dpp v167, v249, v167 quad_perm:[3,3,3,3] row_mask:0xf bank_mask:0xf// 000000021ED8: 0B4F4EFA FF00FFF9
	v_mul_f32_dpp v168, v250, v168 quad_perm:[0,0,0,0] row_mask:0xf bank_mask:0xf// 000000021EE0: 0B5150FA FF0000FA
	v_mul_f32_dpp v169, v250, v169 quad_perm:[1,1,1,1] row_mask:0xf bank_mask:0xf// 000000021EE8: 0B5352FA FF0055FA
	v_mul_f32_dpp v170, v250, v170 quad_perm:[2,2,2,2] row_mask:0xf bank_mask:0xf// 000000021EF0: 0B5554FA FF00AAFA
	v_mul_f32_dpp v171, v250, v171 quad_perm:[3,3,3,3] row_mask:0xf bank_mask:0xf// 000000021EF8: 0B5756FA FF00FFFA
	v_mul_f32_dpp v172, v251, v172 quad_perm:[0,0,0,0] row_mask:0xf bank_mask:0xf// 000000021F00: 0B5958FA FF0000FB
	v_mul_f32_dpp v173, v251, v173 quad_perm:[1,1,1,1] row_mask:0xf bank_mask:0xf// 000000021F08: 0B5B5AFA FF0055FB
	v_mul_f32_dpp v174, v251, v174 quad_perm:[2,2,2,2] row_mask:0xf bank_mask:0xf// 000000021F10: 0B5D5CFA FF00AAFB
	v_mul_f32_dpp v175, v251, v175 quad_perm:[3,3,3,3] row_mask:0xf bank_mask:0xf// 000000021F18: 0B5F5EFA FF00FFFB
	v_mov_b32_e32 v48, v160                                    // 000000021F20: 7E6003A0
	v_max3_f32 v48, v160, v161, v48                            // 000000021F24: D1D30030 04C343A0
	v_max3_f32 v48, v162, v163, v48                            // 000000021F2C: D1D30030 04C347A2
	v_max3_f32 v48, v164, v165, v48                            // 000000021F34: D1D30030 04C34BA4
	v_max3_f32 v48, v166, v167, v48                            // 000000021F3C: D1D30030 04C34FA6
	v_max3_f32 v48, v168, v169, v48                            // 000000021F44: D1D30030 04C353A8
	v_max3_f32 v48, v170, v171, v48                            // 000000021F4C: D1D30030 04C357AA
	v_max3_f32 v48, v172, v173, v48                            // 000000021F54: D1D30030 04C35BAC
	v_max3_f32 v48, v174, v175, v48                            // 000000021F5C: D1D30030 04C35FAE
	ds_write_b32 v8, v48 offset:16896                          // 000000021F64: D81A4200 00003008
	v_mul_f32_e32 v232, v52, v232                              // 000000021F6C: 0BD1D134
	v_mul_f32_e32 v233, v52, v233                              // 000000021F70: 0BD3D334
	v_mul_f32_e32 v234, v52, v234                              // 000000021F74: 0BD5D534
	v_mul_f32_e32 v235, v52, v235                              // 000000021F78: 0BD7D734
	v_mul_f32_e32 v236, v52, v236                              // 000000021F7C: 0BD9D934
	v_mul_f32_e32 v237, v52, v237                              // 000000021F80: 0BDBDB34
	v_mul_f32_e32 v238, v52, v238                              // 000000021F84: 0BDDDD34
	v_mul_f32_e32 v239, v52, v239                              // 000000021F88: 0BDFDF34
	s_waitcnt lgkmcnt(0)                                       // 000000021F8C: BF8CC07F
	s_barrier                                                  // 000000021F90: BF8A0000
	ds_read_b32 v64, v7 offset:16896                           // 000000021F94: D86C4200 40000007
	ds_read_b32 v65, v7 offset:16960                           // 000000021F9C: D86C4240 41000007
	ds_read_b32 v66, v7 offset:17024                           // 000000021FA4: D86C4280 42000007
	ds_read_b32 v67, v7 offset:17088                           // 000000021FAC: D86C42C0 43000007
	ds_read_b32 v68, v7 offset:17152                           // 000000021FB4: D86C4300 44000007
	ds_read_b32 v69, v7 offset:17216                           // 000000021FBC: D86C4340 45000007
	ds_read_b32 v70, v7 offset:17280                           // 000000021FC4: D86C4380 46000007
	ds_read_b32 v71, v7 offset:17344                           // 000000021FCC: D86C43C0 47000007
	ds_read_b32 v72, v7 offset:17408                           // 000000021FD4: D86C4400 48000007
	ds_read_b32 v73, v7 offset:17472                           // 000000021FDC: D86C4440 49000007
	ds_read_b32 v74, v7 offset:17536                           // 000000021FE4: D86C4480 4A000007
	ds_read_b32 v75, v7 offset:17600                           // 000000021FEC: D86C44C0 4B000007
	ds_read_b32 v76, v7 offset:17664                           // 000000021FF4: D86C4500 4C000007
	ds_read_b32 v77, v7 offset:17728                           // 000000021FFC: D86C4540 4D000007
	ds_read_b32 v78, v7 offset:17792                           // 000000022004: D86C4580 4E000007
	ds_read_b32 v79, v7 offset:17856                           // 00000002200C: D86C45C0 4F000007
	v_cvt_f32_i32_e32 v200, v200                               // 000000022014: 7F900BC8
	v_cvt_f32_i32_e32 v201, v201                               // 000000022018: 7F920BC9
	v_cvt_f32_i32_e32 v202, v202                               // 00000002201C: 7F940BCA
	v_cvt_f32_i32_e32 v203, v203                               // 000000022020: 7F960BCB
	v_cvt_f32_i32_e32 v204, v204                               // 000000022024: 7F980BCC
	v_cvt_f32_i32_e32 v205, v205                               // 000000022028: 7F9A0BCD
	v_cvt_f32_i32_e32 v206, v206                               // 00000002202C: 7F9C0BCE
	v_cvt_f32_i32_e32 v207, v207                               // 000000022030: 7F9E0BCF
	v_mul_f32_e32 v200, v47, v200                              // 000000022034: 0B91912F
	v_mul_f32_e32 v201, v47, v201                              // 000000022038: 0B93932F
	v_mul_f32_e32 v202, v47, v202                              // 00000002203C: 0B95952F
	v_mul_f32_e32 v203, v47, v203                              // 000000022040: 0B97972F
	v_mul_f32_e32 v204, v47, v204                              // 000000022044: 0B99992F
	v_mul_f32_e32 v205, v47, v205                              // 000000022048: 0B9B9B2F
	v_mul_f32_e32 v206, v47, v206                              // 00000002204C: 0B9D9D2F
	v_mul_f32_e32 v207, v47, v207                              // 000000022050: 0B9F9F2F
	s_waitcnt lgkmcnt(0)                                       // 000000022054: BF8CC07F
	v_max3_f32 v48, v64, v65, v48                              // 000000022058: D1D30030 04C28340
	v_max3_f32 v48, v66, v67, v48                              // 000000022060: D1D30030 04C28742
	v_max3_f32 v48, v68, v69, v48                              // 000000022068: D1D30030 04C28B44
	v_max3_f32 v48, v70, v71, v48                              // 000000022070: D1D30030 04C28F46
	v_max3_f32 v48, v72, v73, v48                              // 000000022078: D1D30030 04C29348
	v_max3_f32 v48, v74, v75, v48                              // 000000022080: D1D30030 04C2974A
	v_max3_f32 v48, v76, v77, v48                              // 000000022088: D1D30030 04C29B4C
	v_max3_f32 v48, v78, v79, v48                              // 000000022090: D1D30030 04C29F4E
	v_mov_b32_e32 v64, 0xff800000                              // 000000022098: 7E8002FF FF800000
	v_cmp_eq_u32_e64 s[40:41], v64, v14                        // 0000000220A0: D0CA0028 00021D40
	s_nop 1                                                    // 0000000220A8: BF800001
	v_max_f32_e32 v15, v48, v14                                // 0000000220AC: 161E1D30
	v_mul_f32_e32 v53, s64, v15                                // 0000000220B0: 0A6A1E40
	v_fma_f32 v160, v160, s64, -v53                            // 0000000220B4: D1CB00A0 84D481A0
	v_fma_f32 v161, v161, s64, -v53                            // 0000000220BC: D1CB00A1 84D481A1
	v_fma_f32 v162, v162, s64, -v53                            // 0000000220C4: D1CB00A2 84D481A2
	v_fma_f32 v163, v163, s64, -v53                            // 0000000220CC: D1CB00A3 84D481A3
	v_fma_f32 v164, v164, s64, -v53                            // 0000000220D4: D1CB00A4 84D481A4
	v_fma_f32 v165, v165, s64, -v53                            // 0000000220DC: D1CB00A5 84D481A5
	v_fma_f32 v166, v166, s64, -v53                            // 0000000220E4: D1CB00A6 84D481A6
	v_fma_f32 v167, v167, s64, -v53                            // 0000000220EC: D1CB00A7 84D481A7
	v_fma_f32 v168, v168, s64, -v53                            // 0000000220F4: D1CB00A8 84D481A8
	v_fma_f32 v169, v169, s64, -v53                            // 0000000220FC: D1CB00A9 84D481A9
	v_fma_f32 v170, v170, s64, -v53                            // 000000022104: D1CB00AA 84D481AA
	v_fma_f32 v171, v171, s64, -v53                            // 00000002210C: D1CB00AB 84D481AB
	v_fma_f32 v172, v172, s64, -v53                            // 000000022114: D1CB00AC 84D481AC
	v_fma_f32 v173, v173, s64, -v53                            // 00000002211C: D1CB00AD 84D481AD
	v_fma_f32 v174, v174, s64, -v53                            // 000000022124: D1CB00AE 84D481AE
	v_fma_f32 v175, v175, s64, -v53                            // 00000002212C: D1CB00AF 84D481AF
	v_exp_f32_e32 v160, v160                                   // 000000022134: 7F4041A0
	v_exp_f32_e32 v161, v161                                   // 000000022138: 7F4241A1
	v_exp_f32_e32 v162, v162                                   // 00000002213C: 7F4441A2
	v_exp_f32_e32 v163, v163                                   // 000000022140: 7F4641A3
	v_exp_f32_e32 v164, v164                                   // 000000022144: 7F4841A4
	v_exp_f32_e32 v165, v165                                   // 000000022148: 7F4A41A5
	v_exp_f32_e32 v166, v166                                   // 00000002214C: 7F4C41A6
	v_exp_f32_e32 v167, v167                                   // 000000022150: 7F4E41A7
	v_exp_f32_e32 v168, v168                                   // 000000022154: 7F5041A8
	v_exp_f32_e32 v169, v169                                   // 000000022158: 7F5241A9
	v_exp_f32_e32 v170, v170                                   // 00000002215C: 7F5441AA
	v_exp_f32_e32 v171, v171                                   // 000000022160: 7F5641AB
	v_exp_f32_e32 v172, v172                                   // 000000022164: 7F5841AC
	v_exp_f32_e32 v173, v173                                   // 000000022168: 7F5A41AD
	v_exp_f32_e32 v174, v174                                   // 00000002216C: 7F5C41AE
	v_exp_f32_e32 v175, v175                                   // 000000022170: 7F5E41AF
	v_mul_f32_dpp v240, v252, v160 quad_perm:[0,0,0,0] row_mask:0xf bank_mask:0xf// 000000022174: 0BE140FA FF0000FC
	v_mul_f32_dpp v241, v252, v161 quad_perm:[1,1,1,1] row_mask:0xf bank_mask:0xf// 00000002217C: 0BE342FA FF0055FC
	v_mul_f32_dpp v242, v252, v162 quad_perm:[2,2,2,2] row_mask:0xf bank_mask:0xf// 000000022184: 0BE544FA FF00AAFC
	v_mul_f32_dpp v243, v252, v163 quad_perm:[3,3,3,3] row_mask:0xf bank_mask:0xf// 00000002218C: 0BE746FA FF00FFFC
	v_mul_f32_dpp v244, v253, v164 quad_perm:[0,0,0,0] row_mask:0xf bank_mask:0xf// 000000022194: 0BE948FA FF0000FD
	v_mul_f32_dpp v245, v253, v165 quad_perm:[1,1,1,1] row_mask:0xf bank_mask:0xf// 00000002219C: 0BEB4AFA FF0055FD
	v_mul_f32_dpp v246, v253, v166 quad_perm:[2,2,2,2] row_mask:0xf bank_mask:0xf// 0000000221A4: 0BED4CFA FF00AAFD
	v_mul_f32_dpp v247, v253, v167 quad_perm:[3,3,3,3] row_mask:0xf bank_mask:0xf// 0000000221AC: 0BEF4EFA FF00FFFD
	v_mul_f32_dpp v248, v254, v168 quad_perm:[0,0,0,0] row_mask:0xf bank_mask:0xf// 0000000221B4: 0BF150FA FF0000FE
	v_mul_f32_dpp v249, v254, v169 quad_perm:[1,1,1,1] row_mask:0xf bank_mask:0xf// 0000000221BC: 0BF352FA FF0055FE
	v_mul_f32_dpp v250, v254, v170 quad_perm:[2,2,2,2] row_mask:0xf bank_mask:0xf// 0000000221C4: 0BF554FA FF00AAFE
	v_mul_f32_dpp v251, v254, v171 quad_perm:[3,3,3,3] row_mask:0xf bank_mask:0xf// 0000000221CC: 0BF756FA FF00FFFE
	v_mul_f32_dpp v252, v255, v172 quad_perm:[0,0,0,0] row_mask:0xf bank_mask:0xf// 0000000221D4: 0BF958FA FF0000FF
	v_mul_f32_dpp v253, v255, v173 quad_perm:[1,1,1,1] row_mask:0xf bank_mask:0xf// 0000000221DC: 0BFB5AFA FF0055FF
	v_mul_f32_dpp v254, v255, v174 quad_perm:[2,2,2,2] row_mask:0xf bank_mask:0xf// 0000000221E4: 0BFD5CFA FF00AAFF
	v_mul_f32_dpp v255, v255, v175 quad_perm:[3,3,3,3] row_mask:0xf bank_mask:0xf// 0000000221EC: 0BFF5EFA FF00FFFF
	v_mov_b32_e32 v48, 0x358637bd                              // 0000000221F4: 7E6002FF 358637BD
	v_max3_f32 v48, |v240|, |v241|, v48                        // 0000000221FC: D1D30330 04C3E3F0
	v_max3_f32 v48, |v242|, |v243|, v48                        // 000000022204: D1D30330 04C3E7F2
	v_max3_f32 v48, |v244|, |v245|, v48                        // 00000002220C: D1D30330 04C3EBF4
	v_max3_f32 v48, |v246|, |v247|, v48                        // 000000022214: D1D30330 04C3EFF6
	v_max3_f32 v48, |v248|, |v249|, v48                        // 00000002221C: D1D30330 04C3F3F8
	v_max3_f32 v48, |v250|, |v251|, v48                        // 000000022224: D1D30330 04C3F7FA
	v_max3_f32 v48, |v252|, |v253|, v48                        // 00000002222C: D1D30330 04C3FBFC
	v_max3_f32 v48, |v254|, |v255|, v48                        // 000000022234: D1D30330 04C3FFFE
	ds_write_b32 v8, v48 offset:20992                          // 00000002223C: D81A5200 00003008
	v_sub_f32_e32 v52, v14, v15                                // 000000022244: 04681F0E
	v_cndmask_b32_e64 v52, v52, 0, s[40:41]                    // 000000022248: D1000034 00A10134
	v_mov_b32_e32 v14, v15                                     // 000000022250: 7E1C030F
	v_mul_f32_e32 v52, s64, v52                                // 000000022254: 0A686840
	v_exp_f32_e32 v52, v52                                     // 000000022258: 7E684134
	s_waitcnt lgkmcnt(0)                                       // 00000002225C: BF8CC07F
	s_barrier                                                  // 000000022260: BF8A0000
	ds_read_b32 v64, v7 offset:20992                           // 000000022264: D86C5200 40000007
	ds_read_b32 v65, v7 offset:21056                           // 00000002226C: D86C5240 41000007
	ds_read_b32 v66, v7 offset:21120                           // 000000022274: D86C5280 42000007
	ds_read_b32 v67, v7 offset:21184                           // 00000002227C: D86C52C0 43000007
	ds_read_b32 v68, v7 offset:21248                           // 000000022284: D86C5300 44000007
	ds_read_b32 v69, v7 offset:21312                           // 00000002228C: D86C5340 45000007
	ds_read_b32 v70, v7 offset:21376                           // 000000022294: D86C5380 46000007
	ds_read_b32 v71, v7 offset:21440                           // 00000002229C: D86C53C0 47000007
	ds_read_b32 v72, v7 offset:21504                           // 0000000222A4: D86C5400 48000007
	ds_read_b32 v73, v7 offset:21568                           // 0000000222AC: D86C5440 49000007
	ds_read_b32 v74, v7 offset:21632                           // 0000000222B4: D86C5480 4A000007
	ds_read_b32 v75, v7 offset:21696                           // 0000000222BC: D86C54C0 4B000007
	ds_read_b32 v76, v7 offset:21760                           // 0000000222C4: D86C5500 4C000007
	ds_read_b32 v77, v7 offset:21824                           // 0000000222CC: D86C5540 4D000007
	ds_read_b32 v78, v7 offset:21888                           // 0000000222D4: D86C5580 4E000007
	ds_read_b32 v79, v7 offset:21952                           // 0000000222DC: D86C55C0 4F000007
	v_mul_f32_e32 v41, v52, v41                                // 0000000222E4: 0A525334
	v_mov_b32_e32 v15, v160                                    // 0000000222E8: 7E1E03A0
	v_add_f32_e32 v15, v161, v15                               // 0000000222EC: 021E1FA1
	v_add_f32_e32 v15, v162, v15                               // 0000000222F0: 021E1FA2
	v_add_f32_e32 v15, v163, v15                               // 0000000222F4: 021E1FA3
	v_add_f32_e32 v15, v164, v15                               // 0000000222F8: 021E1FA4
	v_add_f32_e32 v15, v165, v15                               // 0000000222FC: 021E1FA5
	v_add_f32_e32 v15, v166, v15                               // 000000022300: 021E1FA6
	v_add_f32_e32 v15, v167, v15                               // 000000022304: 021E1FA7
	v_add_f32_e32 v15, v168, v15                               // 000000022308: 021E1FA8
	v_add_f32_e32 v15, v169, v15                               // 00000002230C: 021E1FA9
	v_add_f32_e32 v15, v170, v15                               // 000000022310: 021E1FAA
	v_add_f32_e32 v15, v171, v15                               // 000000022314: 021E1FAB
	v_add_f32_e32 v15, v172, v15                               // 000000022318: 021E1FAC
	v_add_f32_e32 v15, v173, v15                               // 00000002231C: 021E1FAD
	v_add_f32_e32 v15, v174, v15                               // 000000022320: 021E1FAE
	v_add_f32_e32 v15, v175, v15                               // 000000022324: 021E1FAF
	v_add_f32_e32 v41, v15, v41                                // 000000022328: 0252530F
	s_waitcnt lgkmcnt(0)                                       // 00000002232C: BF8CC07F
	v_max3_f32 v48, |v64|, |v65|, v48                          // 000000022330: D1D30330 04C28340
	v_max3_f32 v48, |v66|, |v67|, v48                          // 000000022338: D1D30330 04C28742
	v_max3_f32 v48, |v68|, |v69|, v48                          // 000000022340: D1D30330 04C28B44
	v_max3_f32 v48, |v70|, |v71|, v48                          // 000000022348: D1D30330 04C28F46
	v_max3_f32 v48, |v72|, |v73|, v48                          // 000000022350: D1D30330 04C29348
	v_max3_f32 v48, |v74|, |v75|, v48                          // 000000022358: D1D30330 04C2974A
	v_max3_f32 v48, |v76|, |v77|, v48                          // 000000022360: D1D30330 04C29B4C
	v_max3_f32 v48, |v78|, |v79|, v48                          // 000000022368: D1D30330 04C29F4E
	s_nop 2                                                    // 000000022370: BF800002
	v_rcp_f32_e32 v48, v48                                     // 000000022374: 7E604530
	s_nop 1                                                    // 000000022378: BF800001
	v_mul_f32_e32 v48, 0x42fe0000, v48                         // 00000002237C: 0A6060FF 42FE0000
	v_mul_f32_e32 v160, v48, v240                              // 000000022384: 0B41E130
	v_mul_f32_e32 v161, v48, v241                              // 000000022388: 0B43E330
	v_mul_f32_e32 v162, v48, v242                              // 00000002238C: 0B45E530
	v_mul_f32_e32 v163, v48, v243                              // 000000022390: 0B47E730
	v_mul_f32_e32 v164, v48, v244                              // 000000022394: 0B49E930
	v_mul_f32_e32 v165, v48, v245                              // 000000022398: 0B4BEB30
	v_mul_f32_e32 v166, v48, v246                              // 00000002239C: 0B4DED30
	v_mul_f32_e32 v167, v48, v247                              // 0000000223A0: 0B4FEF30
	v_mul_f32_e32 v168, v48, v248                              // 0000000223A4: 0B51F130
	v_mul_f32_e32 v169, v48, v249                              // 0000000223A8: 0B53F330
	v_mul_f32_e32 v170, v48, v250                              // 0000000223AC: 0B55F530
	v_mul_f32_e32 v171, v48, v251                              // 0000000223B0: 0B57F730
	v_mul_f32_e32 v172, v48, v252                              // 0000000223B4: 0B59F930
	v_mul_f32_e32 v173, v48, v253                              // 0000000223B8: 0B5BFB30
	v_mul_f32_e32 v174, v48, v254                              // 0000000223BC: 0B5DFD30
	v_mul_f32_e32 v175, v48, v255                              // 0000000223C0: 0B5FFF30
	v_cvt_i32_f32_e32 v160, v160                               // 0000000223C4: 7F4011A0
	v_cvt_i32_f32_e32 v161, v161                               // 0000000223C8: 7F4211A1
	v_cvt_i32_f32_e32 v162, v162                               // 0000000223CC: 7F4411A2
	v_cvt_i32_f32_e32 v163, v163                               // 0000000223D0: 7F4611A3
	v_cvt_i32_f32_e32 v164, v164                               // 0000000223D4: 7F4811A4
	v_cvt_i32_f32_e32 v165, v165                               // 0000000223D8: 7F4A11A5
	v_cvt_i32_f32_e32 v166, v166                               // 0000000223DC: 7F4C11A6
	v_cvt_i32_f32_e32 v167, v167                               // 0000000223E0: 7F4E11A7
	v_cvt_i32_f32_e32 v168, v168                               // 0000000223E4: 7F5011A8
	v_cvt_i32_f32_e32 v169, v169                               // 0000000223E8: 7F5211A9
	v_cvt_i32_f32_e32 v170, v170                               // 0000000223EC: 7F5411AA
	v_cvt_i32_f32_e32 v171, v171                               // 0000000223F0: 7F5611AB
	v_cvt_i32_f32_e32 v172, v172                               // 0000000223F4: 7F5811AC
	v_cvt_i32_f32_e32 v173, v173                               // 0000000223F8: 7F5A11AD
	v_cvt_i32_f32_e32 v174, v174                               // 0000000223FC: 7F5C11AE
	v_cvt_i32_f32_e32 v175, v175                               // 000000022400: 7F5E11AF
	v_perm_b32 v160, v161, v160, s53                           // 000000022404: D1ED00A0 00D741A1
	v_perm_b32 v160, v162, v160, s54                           // 00000002240C: D1ED00A0 00DB41A2
	v_perm_b32 v160, v163, v160, s55                           // 000000022414: D1ED00A0 00DF41A3
	v_perm_b32 v161, v165, v164, s53                           // 00000002241C: D1ED00A1 00D749A5
	v_perm_b32 v161, v166, v161, s54                           // 000000022424: D1ED00A1 00DB43A6
	v_perm_b32 v161, v167, v161, s55                           // 00000002242C: D1ED00A1 00DF43A7
	v_perm_b32 v162, v169, v168, s53                           // 000000022434: D1ED00A2 00D751A9
	v_perm_b32 v162, v170, v162, s54                           // 00000002243C: D1ED00A2 00DB45AA
	v_perm_b32 v162, v171, v162, s55                           // 000000022444: D1ED00A2 00DF45AB
	v_perm_b32 v163, v173, v172, s53                           // 00000002244C: D1ED00A3 00D759AD
	v_perm_b32 v163, v174, v163, s54                           // 000000022454: D1ED00A3 00DB47AE
	v_perm_b32 v163, v175, v163, s55                           // 00000002245C: D1ED00A3 00DF47AF
	ds_write_b32 v10, v160 offset:37376                        // 000000022464: D81A9200 0000A00A
	ds_write_b32 v10, v161 offset:38400                        // 00000002246C: D81A9600 0000A10A
	ds_write_b32 v10, v162 offset:39424                        // 000000022474: D81A9A00 0000A20A
	ds_write_b32 v10, v163 offset:40448                        // 00000002247C: D81A9E00 0000A30A
	v_add_f32_e32 v232, v232, v200                             // 000000022484: 03D191E8
	v_add_f32_e32 v233, v233, v201                             // 000000022488: 03D393E9
	v_add_f32_e32 v234, v234, v202                             // 00000002248C: 03D595EA
	v_add_f32_e32 v235, v235, v203                             // 000000022490: 03D797EB
	v_add_f32_e32 v236, v236, v204                             // 000000022494: 03D999EC
	v_add_f32_e32 v237, v237, v205                             // 000000022498: 03DB9BED
	v_add_f32_e32 v238, v238, v206                             // 00000002249C: 03DD9DEE
	v_add_f32_e32 v239, v239, v207                             // 0000000224A0: 03DF9FEF
	v_rcp_f32_e32 v47, v48                                     // 0000000224A4: 7E5E4530
	s_waitcnt lgkmcnt(0)                                       // 0000000224A8: BF8CC07F
	s_barrier                                                  // 0000000224AC: BF8A0000
	ds_read_b64 v[160:161], v9 offset:37376                    // 0000000224B0: D8EC9200 A0000009
	ds_read_b64 v[162:163], v9 offset:37504                    // 0000000224B8: D8EC9280 A2000009
	ds_read_b64 v[164:165], v9 offset:38400                    // 0000000224C0: D8EC9600 A4000009
	ds_read_b64 v[166:167], v9 offset:38528                    // 0000000224C8: D8EC9680 A6000009
	ds_read_b64 v[168:169], v9 offset:39424                    // 0000000224D0: D8EC9A00 A8000009
	ds_read_b64 v[170:171], v9 offset:39552                    // 0000000224D8: D8EC9A80 AA000009
	ds_read_b64 v[172:173], v9 offset:40448                    // 0000000224E0: D8EC9E00 AC000009
	ds_read_b64 v[174:175], v9 offset:40576                    // 0000000224E8: D8EC9E80 AE000009
	s_waitcnt vmcnt(15)                                        // 0000000224F0: BF8C0F7F
	v_mfma_i32_16x16x32_i8 v[176:179], a[64:65], v[112:113], 0 // 0000000224F4: D3D700B0 0A02E140
	buffer_load_dwordx4 a[112:115], v34, s[20:23], 0 offen offset:1024// 0000000224FC: E05C1400 80857022
	v_mfma_i32_16x16x32_i8 v[176:179], a[66:67], v[114:115], v[176:179]// 000000022504: D3D700B0 0EC2E542
	v_mfma_i32_16x16x32_i8 v[176:179], a[68:69], v[116:117], v[176:179]// 00000002250C: D3D700B0 0EC2E944
	v_mfma_i32_16x16x32_i8 v[176:179], a[70:71], v[118:119], v[176:179]// 000000022514: D3D700B0 0EC2ED46
	v_mfma_i32_16x16x32_i8 v[176:179], a[72:73], v[120:121], v[176:179]// 00000002251C: D3D700B0 0EC2F148
	buffer_load_dwordx4 a[116:119], v35, s[20:23], 0 offen offset:1024// 000000022524: E05C1400 80857423
	v_mfma_i32_16x16x32_i8 v[176:179], a[74:75], v[122:123], v[176:179]// 00000002252C: D3D700B0 0EC2F54A
	v_mfma_i32_16x16x32_i8 v[176:179], a[76:77], v[124:125], v[176:179]// 000000022534: D3D700B0 0EC2F94C
	v_mfma_i32_16x16x32_i8 v[176:179], a[78:79], v[126:127], v[176:179]// 00000002253C: D3D700B0 0EC2FD4E
	v_mfma_i32_16x16x32_i8 v[180:183], a[80:81], v[112:113], 0 // 000000022544: D3D700B4 0A02E150
	buffer_load_dwordx4 a[120:123], v36, s[20:23], 0 offen offset:1024// 00000002254C: E05C1400 80857824
	v_mfma_i32_16x16x32_i8 v[180:183], a[82:83], v[114:115], v[180:183]// 000000022554: D3D700B4 0ED2E552
	v_mfma_i32_16x16x32_i8 v[180:183], a[84:85], v[116:117], v[180:183]// 00000002255C: D3D700B4 0ED2E954
	v_mfma_i32_16x16x32_i8 v[180:183], a[86:87], v[118:119], v[180:183]// 000000022564: D3D700B4 0ED2ED56
	v_mfma_i32_16x16x32_i8 v[180:183], a[88:89], v[120:121], v[180:183]// 00000002256C: D3D700B4 0ED2F158
	buffer_load_dwordx4 a[124:127], v37, s[20:23], 0 offen offset:1024// 000000022574: E05C1400 80857C25
	v_mfma_i32_16x16x32_i8 v[180:183], a[90:91], v[122:123], v[180:183]// 00000002257C: D3D700B4 0ED2F55A
	v_mfma_i32_16x16x32_i8 v[180:183], a[92:93], v[124:125], v[180:183]// 000000022584: D3D700B4 0ED2F95C
	s_lshr_b32 s57, s70, 4                                     // 00000002258C: 8F398446
	s_add_u32 s57, 48, s57                                     // 000000022590: 803939B0
	v_mfma_i32_16x16x32_i8 v[180:183], a[94:95], v[126:127], v[180:183]// 000000022594: D3D700B4 0ED2FD5E
	s_cmp_ge_u32 s57, s73                                      // 00000002259C: BF094939
	s_cselect_b32 s56, 0, s56                                  // 0000000225A0: 85383880
	v_mfma_i32_16x16x32_i8 v[184:187], a[64:65], v[128:129], 0 // 0000000225A4: D3D700B8 0A030140
	v_mfma_i32_16x16x32_i8 v[184:187], a[66:67], v[130:131], v[184:187]// 0000000225AC: D3D700B8 0EE30542
	v_mfma_i32_16x16x32_i8 v[184:187], a[68:69], v[132:133], v[184:187]// 0000000225B4: D3D700B8 0EE30944
	v_mfma_i32_16x16x32_i8 v[184:187], a[70:71], v[134:135], v[184:187]// 0000000225BC: D3D700B8 0EE30D46
	v_mfma_i32_16x16x32_i8 v[184:187], a[72:73], v[136:137], v[184:187]// 0000000225C4: D3D700B8 0EE31148
	v_mfma_i32_16x16x32_i8 v[184:187], a[74:75], v[138:139], v[184:187]// 0000000225CC: D3D700B8 0EE3154A
	v_mfma_i32_16x16x32_i8 v[184:187], a[76:77], v[140:141], v[184:187]// 0000000225D4: D3D700B8 0EE3194C
	v_mfma_i32_16x16x32_i8 v[184:187], a[78:79], v[142:143], v[184:187]// 0000000225DC: D3D700B8 0EE31D4E
	v_mfma_i32_16x16x32_i8 v[188:191], a[80:81], v[128:129], 0 // 0000000225E4: D3D700BC 0A030150
	v_mfma_i32_16x16x32_i8 v[188:191], a[82:83], v[130:131], v[188:191]// 0000000225EC: D3D700BC 0EF30552
	v_mfma_i32_16x16x32_i8 v[188:191], a[84:85], v[132:133], v[188:191]// 0000000225F4: D3D700BC 0EF30954
	v_mfma_i32_16x16x32_i8 v[188:191], a[86:87], v[134:135], v[188:191]// 0000000225FC: D3D700BC 0EF30D56
	v_mfma_i32_16x16x32_i8 v[188:191], a[88:89], v[136:137], v[188:191]// 000000022604: D3D700BC 0EF31158
	v_mfma_i32_16x16x32_i8 v[188:191], a[90:91], v[138:139], v[188:191]// 00000002260C: D3D700BC 0EF3155A
	v_mfma_i32_16x16x32_i8 v[188:191], a[92:93], v[140:141], v[188:191]// 000000022614: D3D700BC 0EF3195C
	v_mfma_i32_16x16x32_i8 v[188:191], a[94:95], v[142:143], v[188:191]// 00000002261C: D3D700BC 0EF31D5E
	v_mfma_i32_16x16x32_i8 v[192:195], a[64:65], v[144:145], 0 // 000000022624: D3D700C0 0A032140
	v_mfma_i32_16x16x32_i8 v[192:195], a[66:67], v[146:147], v[192:195]// 00000002262C: D3D700C0 0F032542
	v_mfma_i32_16x16x32_i8 v[192:195], a[68:69], v[148:149], v[192:195]// 000000022634: D3D700C0 0F032944
	v_mfma_i32_16x16x32_i8 v[192:195], a[70:71], v[150:151], v[192:195]// 00000002263C: D3D700C0 0F032D46
	v_mfma_i32_16x16x32_i8 v[192:195], a[72:73], v[152:153], v[192:195]// 000000022644: D3D700C0 0F033148
	v_mfma_i32_16x16x32_i8 v[192:195], a[74:75], v[154:155], v[192:195]// 00000002264C: D3D700C0 0F03354A
	v_mfma_i32_16x16x32_i8 v[192:195], a[76:77], v[156:157], v[192:195]// 000000022654: D3D700C0 0F03394C
	v_mfma_i32_16x16x32_i8 v[192:195], a[78:79], v[158:159], v[192:195]// 00000002265C: D3D700C0 0F033D4E
	v_mfma_i32_16x16x32_i8 v[196:199], a[80:81], v[144:145], 0 // 000000022664: D3D700C4 0A032150
	v_mfma_i32_16x16x32_i8 v[196:199], a[82:83], v[146:147], v[196:199]// 00000002266C: D3D700C4 0F132552
	v_mfma_i32_16x16x32_i8 v[196:199], a[84:85], v[148:149], v[196:199]// 000000022674: D3D700C4 0F132954
	v_mfma_i32_16x16x32_i8 v[196:199], a[86:87], v[150:151], v[196:199]// 00000002267C: D3D700C4 0F132D56
	v_mfma_i32_16x16x32_i8 v[196:199], a[88:89], v[152:153], v[196:199]// 000000022684: D3D700C4 0F133158
	v_mfma_i32_16x16x32_i8 v[196:199], a[90:91], v[154:155], v[196:199]// 00000002268C: D3D700C4 0F13355A
	v_mfma_i32_16x16x32_i8 v[196:199], a[92:93], v[156:157], v[196:199]// 000000022694: D3D700C4 0F13395C
	v_mfma_i32_16x16x32_i8 v[196:199], a[94:95], v[158:159], v[196:199]// 00000002269C: D3D700C4 0F133D5E
	v_mfma_i32_16x16x32_i8 v[200:203], a[64:65], v[160:161], 0 // 0000000226A4: D3D700C8 0A034140
	v_mfma_i32_16x16x32_i8 v[200:203], a[66:67], v[162:163], v[200:203]// 0000000226AC: D3D700C8 0F234542
	v_mfma_i32_16x16x32_i8 v[200:203], a[68:69], v[164:165], v[200:203]// 0000000226B4: D3D700C8 0F234944
	v_mfma_i32_16x16x32_i8 v[200:203], a[70:71], v[166:167], v[200:203]// 0000000226BC: D3D700C8 0F234D46
	v_mfma_i32_16x16x32_i8 v[200:203], a[72:73], v[168:169], v[200:203]// 0000000226C4: D3D700C8 0F235148
	v_mfma_i32_16x16x32_i8 v[200:203], a[74:75], v[170:171], v[200:203]// 0000000226CC: D3D700C8 0F23554A
	v_mfma_i32_16x16x32_i8 v[200:203], a[76:77], v[172:173], v[200:203]// 0000000226D4: D3D700C8 0F23594C
	v_mfma_i32_16x16x32_i8 v[200:203], a[78:79], v[174:175], v[200:203]// 0000000226DC: D3D700C8 0F235D4E
	v_mfma_i32_16x16x32_i8 v[204:207], a[80:81], v[160:161], 0 // 0000000226E4: D3D700CC 0A034150
	v_mfma_i32_16x16x32_i8 v[204:207], a[82:83], v[162:163], v[204:207]// 0000000226EC: D3D700CC 0F334552
	v_mfma_i32_16x16x32_i8 v[204:207], a[84:85], v[164:165], v[204:207]// 0000000226F4: D3D700CC 0F334954
	v_mfma_i32_16x16x32_i8 v[204:207], a[86:87], v[166:167], v[204:207]// 0000000226FC: D3D700CC 0F334D56
	v_mfma_i32_16x16x32_i8 v[204:207], a[88:89], v[168:169], v[204:207]// 000000022704: D3D700CC 0F335158
	v_mfma_i32_16x16x32_i8 v[204:207], a[90:91], v[170:171], v[204:207]// 00000002270C: D3D700CC 0F33555A
	v_mfma_i32_16x16x32_i8 v[204:207], a[92:93], v[172:173], v[204:207]// 000000022714: D3D700CC 0F33595C
	v_mfma_i32_16x16x32_i8 v[204:207], a[94:95], v[174:175], v[204:207]// 00000002271C: D3D700CC 0F335D5E
	v_add_u32_e32 v1, s56, v1                                  // 000000022724: 68020238
	s_addk_i32 s70, 0x100                                      // 000000022728: B7460100
	s_cmp_lt_i32 s70, s71                                      // 00000002272C: BF044746
	s_cbranch_scc0 label_785C                                  // 000000022730: BF84F70F
	s_waitcnt vmcnt(8) lgkmcnt(0)                              // 000000022734: BF8C0078
	v_mul_u32_u24_dpp v64, v16, v54 row_newbcast:0 row_mask:0xf bank_mask:0xf// 000000022738: 10806CFA FF015010
	v_mul_u32_u24_dpp v65, v16, v54 row_newbcast:4 row_mask:0xf bank_mask:0xf// 000000022740: 10826CFA FF015410
	v_mul_u32_u24_dpp v66, v16, v54 row_newbcast:8 row_mask:0xf bank_mask:0xf// 000000022748: 10846CFA FF015810
	v_mul_u32_u24_dpp v67, v16, v54 row_newbcast:12 row_mask:0xf bank_mask:0xf// 000000022750: 10866CFA FF015C10
	v_add_u32_e32 v22, v64, v5                                 // 000000022758: 682C0B40
	v_add_u32_e32 v23, v65, v5                                 // 00000002275C: 682E0B41
	v_add_u32_e32 v24, v66, v5                                 // 000000022760: 68300B42
	v_add_u32_e32 v25, v67, v5                                 // 000000022764: 68320B43
	v_mul_u32_u24_dpp v64, v16, v63 quad_perm:[0,0,0,0] row_mask:0xf bank_mask:0xf// 000000022768: 10807EFA FF000010
	v_add_u32_e32 v2, v64, v59                                 // 000000022770: 68047740
	v_mul_u32_u24_dpp v64, v16, v63 quad_perm:[0,0,0,0] row_mask:0xf bank_mask:0xf// 000000022774: 10807EFA FF000010
	v_add_u32_e32 v55, v64, v60                                // 00000002277C: 686E7940
	v_mfma_i32_16x16x32_i8 v[112:115], a[32:33], v[80:81], 0   // 000000022780: D3D70070 0A02A120
	buffer_load_dwordx4 a[0:3], v22, s[16:19], 0 offen         // 000000022788: E05C1000 80840016
	v_mfma_i32_16x16x32_i8 v[112:115], a[34:35], v[82:83], v[112:115]// 000000022790: D3D70070 0DC2A522
	v_mfma_i32_16x16x32_i8 v[112:115], a[36:37], v[84:85], v[112:115]// 000000022798: D3D70070 0DC2A924
	buffer_load_dword v17, v1, s[24:27], 0 offen               // 0000000227A0: E0501000 80061101
	v_mfma_i32_16x16x32_i8 v[112:115], a[38:39], v[86:87], v[112:115]// 0000000227A8: D3D70070 0DC2AD26
	v_mfma_i32_16x16x32_i8 v[116:119], a[40:41], v[80:81], 0   // 0000000227B0: D3D70074 0A02A128
	buffer_load_dwordx4 a[4:7], v22, s[16:19], 0 offen offset:1024// 0000000227B8: E05C1400 80840416
	v_mfma_i32_16x16x32_i8 v[116:119], a[42:43], v[82:83], v[116:119]// 0000000227C0: D3D70074 0DD2A52A
	v_mfma_i32_16x16x32_i8 v[116:119], a[44:45], v[84:85], v[116:119]// 0000000227C8: D3D70074 0DD2A92C
	v_mfma_i32_16x16x32_i8 v[116:119], a[46:47], v[86:87], v[116:119]// 0000000227D0: D3D70074 0DD2AD2E
	v_mfma_i32_16x16x32_i8 v[120:123], a[48:49], v[80:81], 0   // 0000000227D8: D3D70078 0A02A130
	buffer_load_dwordx4 a[8:11], v23, s[16:19], 0 offen        // 0000000227E0: E05C1000 80840817
	v_mfma_i32_16x16x32_i8 v[120:123], a[50:51], v[82:83], v[120:123]// 0000000227E8: D3D70078 0DE2A532
	v_mfma_i32_16x16x32_i8 v[120:123], a[52:53], v[84:85], v[120:123]// 0000000227F0: D3D70078 0DE2A934
	v_mfma_i32_16x16x32_i8 v[120:123], a[54:55], v[86:87], v[120:123]// 0000000227F8: D3D70078 0DE2AD36
	v_mfma_i32_16x16x32_i8 v[124:127], a[56:57], v[80:81], 0   // 000000022800: D3D7007C 0A02A138
	buffer_load_dwordx4 a[12:15], v23, s[16:19], 0 offen offset:1024// 000000022808: E05C1400 80840C17
	v_mfma_i32_16x16x32_i8 v[124:127], a[58:59], v[82:83], v[124:127]// 000000022810: D3D7007C 0DF2A53A
	v_mfma_i32_16x16x32_i8 v[124:127], a[60:61], v[84:85], v[124:127]// 000000022818: D3D7007C 0DF2A93C
	v_mfma_i32_16x16x32_i8 v[124:127], a[62:63], v[86:87], v[124:127]// 000000022820: D3D7007C 0DF2AD3E
	v_mfma_i32_16x16x32_i8 v[128:131], a[32:33], v[88:89], 0   // 000000022828: D3D70080 0A02B120
	v_mfma_i32_16x16x32_i8 v[128:131], a[34:35], v[90:91], v[128:131]// 000000022830: D3D70080 0E02B522
	v_mfma_i32_16x16x32_i8 v[128:131], a[36:37], v[92:93], v[128:131]// 000000022838: D3D70080 0E02B924
	v_mfma_i32_16x16x32_i8 v[128:131], a[38:39], v[94:95], v[128:131]// 000000022840: D3D70080 0E02BD26
	v_mfma_i32_16x16x32_i8 v[132:135], a[40:41], v[88:89], 0   // 000000022848: D3D70084 0A02B128
	v_mfma_i32_16x16x32_i8 v[132:135], a[42:43], v[90:91], v[132:135]// 000000022850: D3D70084 0E12B52A
	v_mfma_i32_16x16x32_i8 v[132:135], a[44:45], v[92:93], v[132:135]// 000000022858: D3D70084 0E12B92C
	v_mfma_i32_16x16x32_i8 v[132:135], a[46:47], v[94:95], v[132:135]// 000000022860: D3D70084 0E12BD2E
	v_mfma_i32_16x16x32_i8 v[136:139], a[48:49], v[88:89], 0   // 000000022868: D3D70088 0A02B130
	v_mfma_i32_16x16x32_i8 v[136:139], a[50:51], v[90:91], v[136:139]// 000000022870: D3D70088 0E22B532
	v_mfma_i32_16x16x32_i8 v[136:139], a[52:53], v[92:93], v[136:139]// 000000022878: D3D70088 0E22B934
	v_mfma_i32_16x16x32_i8 v[136:139], a[54:55], v[94:95], v[136:139]// 000000022880: D3D70088 0E22BD36
	v_mfma_i32_16x16x32_i8 v[140:143], a[56:57], v[88:89], 0   // 000000022888: D3D7008C 0A02B138
	v_mfma_i32_16x16x32_i8 v[140:143], a[58:59], v[90:91], v[140:143]// 000000022890: D3D7008C 0E32B53A
	v_mfma_i32_16x16x32_i8 v[140:143], a[60:61], v[92:93], v[140:143]// 000000022898: D3D7008C 0E32B93C
	v_mfma_i32_16x16x32_i8 v[140:143], a[62:63], v[94:95], v[140:143]// 0000000228A0: D3D7008C 0E32BD3E
	v_mfma_i32_16x16x32_i8 v[144:147], a[32:33], v[96:97], 0   // 0000000228A8: D3D70090 0A02C120
	v_mfma_i32_16x16x32_i8 v[144:147], a[34:35], v[98:99], v[144:147]// 0000000228B0: D3D70090 0E42C522
	v_mfma_i32_16x16x32_i8 v[144:147], a[36:37], v[100:101], v[144:147]// 0000000228B8: D3D70090 0E42C924
	v_mfma_i32_16x16x32_i8 v[144:147], a[38:39], v[102:103], v[144:147]// 0000000228C0: D3D70090 0E42CD26
	v_mfma_i32_16x16x32_i8 v[148:151], a[40:41], v[96:97], 0   // 0000000228C8: D3D70094 0A02C128
	v_mfma_i32_16x16x32_i8 v[148:151], a[42:43], v[98:99], v[148:151]// 0000000228D0: D3D70094 0E52C52A
	v_mfma_i32_16x16x32_i8 v[148:151], a[44:45], v[100:101], v[148:151]// 0000000228D8: D3D70094 0E52C92C
	v_mfma_i32_16x16x32_i8 v[148:151], a[46:47], v[102:103], v[148:151]// 0000000228E0: D3D70094 0E52CD2E
	v_mfma_i32_16x16x32_i8 v[152:155], a[48:49], v[96:97], 0   // 0000000228E8: D3D70098 0A02C130
	v_mfma_i32_16x16x32_i8 v[152:155], a[50:51], v[98:99], v[152:155]// 0000000228F0: D3D70098 0E62C532
	v_mfma_i32_16x16x32_i8 v[152:155], a[52:53], v[100:101], v[152:155]// 0000000228F8: D3D70098 0E62C934
	v_mfma_i32_16x16x32_i8 v[152:155], a[54:55], v[102:103], v[152:155]// 000000022900: D3D70098 0E62CD36
	v_mfma_i32_16x16x32_i8 v[156:159], a[56:57], v[96:97], 0   // 000000022908: D3D7009C 0A02C138
	v_mfma_i32_16x16x32_i8 v[156:159], a[58:59], v[98:99], v[156:159]// 000000022910: D3D7009C 0E72C53A
	v_mfma_i32_16x16x32_i8 v[156:159], a[60:61], v[100:101], v[156:159]// 000000022918: D3D7009C 0E72C93C
	v_mfma_i32_16x16x32_i8 v[156:159], a[62:63], v[102:103], v[156:159]// 000000022920: D3D7009C 0E72CD3E
	v_mfma_i32_16x16x32_i8 v[160:163], a[32:33], v[104:105], 0 // 000000022928: D3D700A0 0A02D120
	v_mfma_i32_16x16x32_i8 v[160:163], a[34:35], v[106:107], v[160:163]// 000000022930: D3D700A0 0E82D522
	v_mfma_i32_16x16x32_i8 v[160:163], a[36:37], v[108:109], v[160:163]// 000000022938: D3D700A0 0E82D924
	v_mfma_i32_16x16x32_i8 v[160:163], a[38:39], v[110:111], v[160:163]// 000000022940: D3D700A0 0E82DD26
	v_mfma_i32_16x16x32_i8 v[164:167], a[40:41], v[104:105], 0 // 000000022948: D3D700A4 0A02D128
	v_mfma_i32_16x16x32_i8 v[164:167], a[42:43], v[106:107], v[164:167]// 000000022950: D3D700A4 0E92D52A
	v_mfma_i32_16x16x32_i8 v[164:167], a[44:45], v[108:109], v[164:167]// 000000022958: D3D700A4 0E92D92C
	v_mfma_i32_16x16x32_i8 v[164:167], a[46:47], v[110:111], v[164:167]// 000000022960: D3D700A4 0E92DD2E
	v_mfma_i32_16x16x32_i8 v[168:171], a[48:49], v[104:105], 0 // 000000022968: D3D700A8 0A02D130
	v_mfma_i32_16x16x32_i8 v[168:171], a[50:51], v[106:107], v[168:171]// 000000022970: D3D700A8 0EA2D532
	v_mfma_i32_16x16x32_i8 v[168:171], a[52:53], v[108:109], v[168:171]// 000000022978: D3D700A8 0EA2D934
	v_mfma_i32_16x16x32_i8 v[168:171], a[54:55], v[110:111], v[168:171]// 000000022980: D3D700A8 0EA2DD36
	v_mfma_i32_16x16x32_i8 v[172:175], a[56:57], v[104:105], 0 // 000000022988: D3D700AC 0A02D138
	v_mfma_i32_16x16x32_i8 v[172:175], a[58:59], v[106:107], v[172:175]// 000000022990: D3D700AC 0EB2D53A
	v_mfma_i32_16x16x32_i8 v[172:175], a[60:61], v[108:109], v[172:175]// 000000022998: D3D700AC 0EB2D93C
	v_mfma_i32_16x16x32_i8 v[172:175], a[62:63], v[110:111], v[172:175]// 0000000229A0: D3D700AC 0EB2DD3E
	buffer_load_dword v42, v2, s[32:35], 0 offen               // 0000000229A8: E0501000 80082A02
	v_mov_b32_dpp v64, v43 row_shr:4 row_mask:0xf bank_mask:0xf// 0000000229B0: 7E8002FA FF01142B
	v_mov_b32_dpp v65, v43 row_shl:4 row_mask:0xf bank_mask:0xf// 0000000229B8: 7E8202FA FF01042B
	v_cndmask_b32_e64 v248, v43, v64, s[44:45]                 // 0000000229C0: D10000F8 00B2812B
	v_cndmask_b32_e64 v249, v65, v43, s[44:45]                 // 0000000229C8: D10000F9 00B25741
	v_mov_b32_dpp v64, v248 row_shr:8 row_mask:0xf bank_mask:0xf// 0000000229D0: 7E8002FA FF0118F8
	v_mov_b32_dpp v65, v248 row_shl:8 row_mask:0xf bank_mask:0xf// 0000000229D8: 7E8202FA FF0108F8
	v_mov_b32_dpp v66, v249 row_shr:8 row_mask:0xf bank_mask:0xf// 0000000229E0: 7E8402FA FF0118F9
	v_mov_b32_dpp v67, v249 row_shl:8 row_mask:0xf bank_mask:0xf// 0000000229E8: 7E8602FA FF0108F9
	v_mov_b32_e32 v68, v248                                    // 0000000229F0: 7E8803F8
	v_mov_b32_e32 v69, v249                                    // 0000000229F4: 7E8A03F9
	v_cndmask_b32_e64 v248, v68, v64, s[42:43]                 // 0000000229F8: D10000F8 00AA8144
	v_cndmask_b32_e64 v250, v68, v65, s[78:79]                 // 000000022A00: D10000FA 013A8344
	v_cndmask_b32_e64 v249, v69, v66, s[42:43]                 // 000000022A08: D10000F9 00AA8545
	v_cndmask_b32_e64 v251, v69, v67, s[78:79]                 // 000000022A10: D10000FB 013A8745
	v_mov_b32_dpp v64, v58 row_shr:4 row_mask:0xf bank_mask:0xf// 000000022A18: 7E8002FA FF01143A
	v_mov_b32_dpp v65, v58 row_shl:4 row_mask:0xf bank_mask:0xf// 000000022A20: 7E8202FA FF01043A
	v_cndmask_b32_e64 v252, v58, v64, s[44:45]                 // 000000022A28: D10000FC 00B2813A
	v_cndmask_b32_e64 v253, v65, v58, s[44:45]                 // 000000022A30: D10000FD 00B27541
	v_mov_b32_dpp v64, v252 row_shr:8 row_mask:0xf bank_mask:0xf// 000000022A38: 7E8002FA FF0118FC
	v_mov_b32_dpp v65, v252 row_shl:8 row_mask:0xf bank_mask:0xf// 000000022A40: 7E8202FA FF0108FC
	v_mov_b32_dpp v66, v253 row_shr:8 row_mask:0xf bank_mask:0xf// 000000022A48: 7E8402FA FF0118FD
	v_mov_b32_dpp v67, v253 row_shl:8 row_mask:0xf bank_mask:0xf// 000000022A50: 7E8602FA FF0108FD
	v_mov_b32_e32 v68, v252                                    // 000000022A58: 7E8803FC
	v_mov_b32_e32 v69, v253                                    // 000000022A5C: 7E8A03FD
	v_cndmask_b32_e64 v252, v68, v64, s[42:43]                 // 000000022A60: D10000FC 00AA8144
	v_cndmask_b32_e64 v254, v68, v65, s[78:79]                 // 000000022A68: D10000FE 013A8344
	v_cndmask_b32_e64 v253, v69, v66, s[42:43]                 // 000000022A70: D10000FD 00AA8545
	v_cndmask_b32_e64 v255, v69, v67, s[78:79]                 // 000000022A78: D10000FF 013A8745
	buffer_load_dword v57, v55, s[36:39], 0 offen              // 000000022A80: E0501000 80093937
	v_cvt_f32_i32_e32 v112, v112                               // 000000022A88: 7EE00B70
	v_cvt_f32_i32_e32 v113, v113                               // 000000022A8C: 7EE20B71
	v_cvt_f32_i32_e32 v114, v114                               // 000000022A90: 7EE40B72
	v_cvt_f32_i32_e32 v115, v115                               // 000000022A94: 7EE60B73
	v_cvt_f32_i32_e32 v116, v116                               // 000000022A98: 7EE80B74
	v_cvt_f32_i32_e32 v117, v117                               // 000000022A9C: 7EEA0B75
	v_cvt_f32_i32_e32 v118, v118                               // 000000022AA0: 7EEC0B76
	v_cvt_f32_i32_e32 v119, v119                               // 000000022AA4: 7EEE0B77
	v_cvt_f32_i32_e32 v120, v120                               // 000000022AA8: 7EF00B78
	v_cvt_f32_i32_e32 v121, v121                               // 000000022AAC: 7EF20B79
	v_cvt_f32_i32_e32 v122, v122                               // 000000022AB0: 7EF40B7A
	v_cvt_f32_i32_e32 v123, v123                               // 000000022AB4: 7EF60B7B
	v_cvt_f32_i32_e32 v124, v124                               // 000000022AB8: 7EF80B7C
	v_cvt_f32_i32_e32 v125, v125                               // 000000022ABC: 7EFA0B7D
	v_cvt_f32_i32_e32 v126, v126                               // 000000022AC0: 7EFC0B7E
	v_cvt_f32_i32_e32 v127, v127                               // 000000022AC4: 7EFE0B7F
	v_mul_f32_e32 v112, v18, v112                              // 000000022AC8: 0AE0E112
	v_mul_f32_e32 v113, v18, v113                              // 000000022ACC: 0AE2E312
	v_mul_f32_e32 v114, v18, v114                              // 000000022AD0: 0AE4E512
	v_mul_f32_e32 v115, v18, v115                              // 000000022AD4: 0AE6E712
	v_mul_f32_e32 v116, v18, v116                              // 000000022AD8: 0AE8E912
	v_mul_f32_e32 v117, v18, v117                              // 000000022ADC: 0AEAEB12
	v_mul_f32_e32 v118, v18, v118                              // 000000022AE0: 0AECED12
	v_mul_f32_e32 v119, v18, v119                              // 000000022AE4: 0AEEEF12
	v_mul_f32_e32 v120, v18, v120                              // 000000022AE8: 0AF0F112
	v_mul_f32_e32 v121, v18, v121                              // 000000022AEC: 0AF2F312
	v_mul_f32_e32 v122, v18, v122                              // 000000022AF0: 0AF4F512
	v_mul_f32_e32 v123, v18, v123                              // 000000022AF4: 0AF6F712
	v_mul_f32_e32 v124, v18, v124                              // 000000022AF8: 0AF8F912
	v_mul_f32_e32 v125, v18, v125                              // 000000022AFC: 0AFAFB12
	v_mul_f32_e32 v126, v18, v126                              // 000000022B00: 0AFCFD12
	v_mul_f32_e32 v127, v18, v127                              // 000000022B04: 0AFEFF12
	buffer_load_dwordx4 a[16:19], v24, s[16:19], 0 offen       // 000000022B08: E05C1000 80841018
	v_mul_f32_dpp v112, v248, v112 quad_perm:[0,0,0,0] row_mask:0xf bank_mask:0xf// 000000022B10: 0AE0E0FA FF0000F8
	v_mul_f32_dpp v113, v248, v113 quad_perm:[1,1,1,1] row_mask:0xf bank_mask:0xf// 000000022B18: 0AE2E2FA FF0055F8
	v_mul_f32_dpp v114, v248, v114 quad_perm:[2,2,2,2] row_mask:0xf bank_mask:0xf// 000000022B20: 0AE4E4FA FF00AAF8
	v_mul_f32_dpp v115, v248, v115 quad_perm:[3,3,3,3] row_mask:0xf bank_mask:0xf// 000000022B28: 0AE6E6FA FF00FFF8
	v_mul_f32_dpp v116, v249, v116 quad_perm:[0,0,0,0] row_mask:0xf bank_mask:0xf// 000000022B30: 0AE8E8FA FF0000F9
	v_mul_f32_dpp v117, v249, v117 quad_perm:[1,1,1,1] row_mask:0xf bank_mask:0xf// 000000022B38: 0AEAEAFA FF0055F9
	v_mul_f32_dpp v118, v249, v118 quad_perm:[2,2,2,2] row_mask:0xf bank_mask:0xf// 000000022B40: 0AECECFA FF00AAF9
	v_mul_f32_dpp v119, v249, v119 quad_perm:[3,3,3,3] row_mask:0xf bank_mask:0xf// 000000022B48: 0AEEEEFA FF00FFF9
	v_mul_f32_dpp v120, v250, v120 quad_perm:[0,0,0,0] row_mask:0xf bank_mask:0xf// 000000022B50: 0AF0F0FA FF0000FA
	v_mul_f32_dpp v121, v250, v121 quad_perm:[1,1,1,1] row_mask:0xf bank_mask:0xf// 000000022B58: 0AF2F2FA FF0055FA
	v_mul_f32_dpp v122, v250, v122 quad_perm:[2,2,2,2] row_mask:0xf bank_mask:0xf// 000000022B60: 0AF4F4FA FF00AAFA
	v_mul_f32_dpp v123, v250, v123 quad_perm:[3,3,3,3] row_mask:0xf bank_mask:0xf// 000000022B68: 0AF6F6FA FF00FFFA
	v_mul_f32_dpp v124, v251, v124 quad_perm:[0,0,0,0] row_mask:0xf bank_mask:0xf// 000000022B70: 0AF8F8FA FF0000FB
	v_mul_f32_dpp v125, v251, v125 quad_perm:[1,1,1,1] row_mask:0xf bank_mask:0xf// 000000022B78: 0AFAFAFA FF0055FB
	v_mul_f32_dpp v126, v251, v126 quad_perm:[2,2,2,2] row_mask:0xf bank_mask:0xf// 000000022B80: 0AFCFCFA FF00AAFB
	v_mul_f32_dpp v127, v251, v127 quad_perm:[3,3,3,3] row_mask:0xf bank_mask:0xf// 000000022B88: 0AFEFEFA FF00FFFB
	buffer_load_dwordx4 a[20:23], v24, s[16:19], 0 offen offset:1024// 000000022B90: E05C1400 80841418
	v_mov_b32_e32 v48, v112                                    // 000000022B98: 7E600370
	v_max3_f32 v48, v112, v113, v48                            // 000000022B9C: D1D30030 04C2E370
	v_max3_f32 v48, v114, v115, v48                            // 000000022BA4: D1D30030 04C2E772
	v_max3_f32 v48, v116, v117, v48                            // 000000022BAC: D1D30030 04C2EB74
	v_max3_f32 v48, v118, v119, v48                            // 000000022BB4: D1D30030 04C2EF76
	v_max3_f32 v48, v120, v121, v48                            // 000000022BBC: D1D30030 04C2F378
	v_max3_f32 v48, v122, v123, v48                            // 000000022BC4: D1D30030 04C2F77A
	v_max3_f32 v48, v124, v125, v48                            // 000000022BCC: D1D30030 04C2FB7C
	v_max3_f32 v48, v126, v127, v48                            // 000000022BD4: D1D30030 04C2FF7E
	ds_write_b32 v8, v48 offset:16896                          // 000000022BDC: D81A4200 00003008
	buffer_load_dwordx4 a[24:27], v25, s[16:19], 0 offen       // 000000022BE4: E05C1000 80841819
	v_mul_u32_u24_dpp v64, v16, v54 row_newbcast:1 row_mask:0xf bank_mask:0xf// 000000022BEC: 10806CFA FF015110
	v_mul_u32_u24_dpp v65, v16, v54 row_newbcast:5 row_mask:0xf bank_mask:0xf// 000000022BF4: 10826CFA FF015510
	v_mul_u32_u24_dpp v66, v16, v54 row_newbcast:9 row_mask:0xf bank_mask:0xf// 000000022BFC: 10846CFA FF015910
	v_mul_u32_u24_dpp v67, v16, v54 row_newbcast:13 row_mask:0xf bank_mask:0xf// 000000022C04: 10866CFA FF015D10
	v_add_u32_e32 v30, v64, v6                                 // 000000022C0C: 683C0D40
	v_add_u32_e32 v31, v65, v6                                 // 000000022C10: 683E0D41
	v_add_u32_e32 v32, v66, v6                                 // 000000022C14: 68400D42
	v_add_u32_e32 v33, v67, v6                                 // 000000022C18: 68420D43
	v_mul_f32_e32 v208, v49, v208                              // 000000022C1C: 0BA1A131
	v_mul_f32_e32 v209, v49, v209                              // 000000022C20: 0BA3A331
	v_mul_f32_e32 v210, v49, v210                              // 000000022C24: 0BA5A531
	v_mul_f32_e32 v211, v49, v211                              // 000000022C28: 0BA7A731
	v_mul_f32_e32 v212, v49, v212                              // 000000022C2C: 0BA9A931
	v_mul_f32_e32 v213, v49, v213                              // 000000022C30: 0BABAB31
	v_mul_f32_e32 v214, v49, v214                              // 000000022C34: 0BADAD31
	v_mul_f32_e32 v215, v49, v215                              // 000000022C38: 0BAFAF31
	s_waitcnt lgkmcnt(0)                                       // 000000022C3C: BF8CC07F
	s_barrier                                                  // 000000022C40: BF8A0000
	ds_read_b32 v64, v7 offset:16896                           // 000000022C44: D86C4200 40000007
	ds_read_b32 v65, v7 offset:16960                           // 000000022C4C: D86C4240 41000007
	ds_read_b32 v66, v7 offset:17024                           // 000000022C54: D86C4280 42000007
	ds_read_b32 v67, v7 offset:17088                           // 000000022C5C: D86C42C0 43000007
	ds_read_b32 v68, v7 offset:17152                           // 000000022C64: D86C4300 44000007
	ds_read_b32 v69, v7 offset:17216                           // 000000022C6C: D86C4340 45000007
	ds_read_b32 v70, v7 offset:17280                           // 000000022C74: D86C4380 46000007
	ds_read_b32 v71, v7 offset:17344                           // 000000022C7C: D86C43C0 47000007
	ds_read_b32 v72, v7 offset:17408                           // 000000022C84: D86C4400 48000007
	ds_read_b32 v73, v7 offset:17472                           // 000000022C8C: D86C4440 49000007
	ds_read_b32 v74, v7 offset:17536                           // 000000022C94: D86C4480 4A000007
	ds_read_b32 v75, v7 offset:17600                           // 000000022C9C: D86C44C0 4B000007
	ds_read_b32 v76, v7 offset:17664                           // 000000022CA4: D86C4500 4C000007
	ds_read_b32 v77, v7 offset:17728                           // 000000022CAC: D86C4540 4D000007
	ds_read_b32 v78, v7 offset:17792                           // 000000022CB4: D86C4580 4E000007
	ds_read_b32 v79, v7 offset:17856                           // 000000022CBC: D86C45C0 4F000007
	buffer_load_dwordx4 a[28:31], v25, s[16:19], 0 offen offset:1024// 000000022CC4: E05C1400 80841C19
	v_cvt_f32_i32_e32 v176, v176                               // 000000022CCC: 7F600BB0
	v_cvt_f32_i32_e32 v177, v177                               // 000000022CD0: 7F620BB1
	v_cvt_f32_i32_e32 v178, v178                               // 000000022CD4: 7F640BB2
	v_cvt_f32_i32_e32 v179, v179                               // 000000022CD8: 7F660BB3
	v_cvt_f32_i32_e32 v180, v180                               // 000000022CDC: 7F680BB4
	v_cvt_f32_i32_e32 v181, v181                               // 000000022CE0: 7F6A0BB5
	v_cvt_f32_i32_e32 v182, v182                               // 000000022CE4: 7F6C0BB6
	v_cvt_f32_i32_e32 v183, v183                               // 000000022CE8: 7F6E0BB7
	v_mul_f32_e32 v176, v44, v176                              // 000000022CEC: 0B61612C
	v_mul_f32_e32 v177, v44, v177                              // 000000022CF0: 0B63632C
	v_mul_f32_e32 v178, v44, v178                              // 000000022CF4: 0B65652C
	v_mul_f32_e32 v179, v44, v179                              // 000000022CF8: 0B67672C
	v_mul_f32_e32 v180, v44, v180                              // 000000022CFC: 0B69692C
	v_mul_f32_e32 v181, v44, v181                              // 000000022D00: 0B6B6B2C
	v_mul_f32_e32 v182, v44, v182                              // 000000022D04: 0B6D6D2C
	v_mul_f32_e32 v183, v44, v183                              // 000000022D08: 0B6F6F2C
	s_waitcnt lgkmcnt(0)                                       // 000000022D0C: BF8CC07F
	v_max3_f32 v48, v64, v65, v48                              // 000000022D10: D1D30030 04C28340
	v_max3_f32 v48, v66, v67, v48                              // 000000022D18: D1D30030 04C28742
	v_max3_f32 v48, v68, v69, v48                              // 000000022D20: D1D30030 04C28B44
	v_max3_f32 v48, v70, v71, v48                              // 000000022D28: D1D30030 04C28F46
	v_max3_f32 v48, v72, v73, v48                              // 000000022D30: D1D30030 04C29348
	v_max3_f32 v48, v74, v75, v48                              // 000000022D38: D1D30030 04C2974A
	v_max3_f32 v48, v76, v77, v48                              // 000000022D40: D1D30030 04C29B4C
	v_max3_f32 v48, v78, v79, v48                              // 000000022D48: D1D30030 04C29F4E
	buffer_load_dwordx4 a[64:67], v30, s[20:23], 0 offen       // 000000022D50: E05C1000 8085401E
	v_mov_b32_e32 v64, 0xff800000                              // 000000022D58: 7E8002FF FF800000
	v_cmp_eq_u32_e64 s[40:41], v64, v11                        // 000000022D60: D0CA0028 00021740
	s_nop 1                                                    // 000000022D68: BF800001
	v_max_f32_e32 v15, v48, v11                                // 000000022D6C: 161E1730
	v_mul_f32_e32 v53, s64, v15                                // 000000022D70: 0A6A1E40
	v_fma_f32 v112, v112, s64, -v53                            // 000000022D74: D1CB0070 84D48170
	v_fma_f32 v113, v113, s64, -v53                            // 000000022D7C: D1CB0071 84D48171
	v_fma_f32 v114, v114, s64, -v53                            // 000000022D84: D1CB0072 84D48172
	v_fma_f32 v115, v115, s64, -v53                            // 000000022D8C: D1CB0073 84D48173
	v_fma_f32 v116, v116, s64, -v53                            // 000000022D94: D1CB0074 84D48174
	v_fma_f32 v117, v117, s64, -v53                            // 000000022D9C: D1CB0075 84D48175
	v_fma_f32 v118, v118, s64, -v53                            // 000000022DA4: D1CB0076 84D48176
	v_fma_f32 v119, v119, s64, -v53                            // 000000022DAC: D1CB0077 84D48177
	v_fma_f32 v120, v120, s64, -v53                            // 000000022DB4: D1CB0078 84D48178
	v_fma_f32 v121, v121, s64, -v53                            // 000000022DBC: D1CB0079 84D48179
	v_fma_f32 v122, v122, s64, -v53                            // 000000022DC4: D1CB007A 84D4817A
	v_fma_f32 v123, v123, s64, -v53                            // 000000022DCC: D1CB007B 84D4817B
	v_fma_f32 v124, v124, s64, -v53                            // 000000022DD4: D1CB007C 84D4817C
	v_fma_f32 v125, v125, s64, -v53                            // 000000022DDC: D1CB007D 84D4817D
	v_fma_f32 v126, v126, s64, -v53                            // 000000022DE4: D1CB007E 84D4817E
	v_fma_f32 v127, v127, s64, -v53                            // 000000022DEC: D1CB007F 84D4817F
	buffer_load_dwordx4 a[68:71], v31, s[20:23], 0 offen       // 000000022DF4: E05C1000 8085441F
	v_exp_f32_e32 v112, v112                                   // 000000022DFC: 7EE04170
	v_exp_f32_e32 v113, v113                                   // 000000022E00: 7EE24171
	v_exp_f32_e32 v114, v114                                   // 000000022E04: 7EE44172
	v_exp_f32_e32 v115, v115                                   // 000000022E08: 7EE64173
	v_exp_f32_e32 v116, v116                                   // 000000022E0C: 7EE84174
	v_exp_f32_e32 v117, v117                                   // 000000022E10: 7EEA4175
	v_exp_f32_e32 v118, v118                                   // 000000022E14: 7EEC4176
	v_exp_f32_e32 v119, v119                                   // 000000022E18: 7EEE4177
	v_exp_f32_e32 v120, v120                                   // 000000022E1C: 7EF04178
	v_exp_f32_e32 v121, v121                                   // 000000022E20: 7EF24179
	v_exp_f32_e32 v122, v122                                   // 000000022E24: 7EF4417A
	v_exp_f32_e32 v123, v123                                   // 000000022E28: 7EF6417B
	v_exp_f32_e32 v124, v124                                   // 000000022E2C: 7EF8417C
	v_exp_f32_e32 v125, v125                                   // 000000022E30: 7EFA417D
	v_exp_f32_e32 v126, v126                                   // 000000022E34: 7EFC417E
	v_exp_f32_e32 v127, v127                                   // 000000022E38: 7EFE417F
	buffer_load_dwordx4 a[72:75], v32, s[20:23], 0 offen       // 000000022E3C: E05C1000 80854820
	v_mul_f32_dpp v240, v252, v112 quad_perm:[0,0,0,0] row_mask:0xf bank_mask:0xf// 000000022E44: 0BE0E0FA FF0000FC
	v_mul_f32_dpp v241, v252, v113 quad_perm:[1,1,1,1] row_mask:0xf bank_mask:0xf// 000000022E4C: 0BE2E2FA FF0055FC
	v_mul_f32_dpp v242, v252, v114 quad_perm:[2,2,2,2] row_mask:0xf bank_mask:0xf// 000000022E54: 0BE4E4FA FF00AAFC
	v_mul_f32_dpp v243, v252, v115 quad_perm:[3,3,3,3] row_mask:0xf bank_mask:0xf// 000000022E5C: 0BE6E6FA FF00FFFC
	v_mul_f32_dpp v244, v253, v116 quad_perm:[0,0,0,0] row_mask:0xf bank_mask:0xf// 000000022E64: 0BE8E8FA FF0000FD
	v_mul_f32_dpp v245, v253, v117 quad_perm:[1,1,1,1] row_mask:0xf bank_mask:0xf// 000000022E6C: 0BEAEAFA FF0055FD
	v_mul_f32_dpp v246, v253, v118 quad_perm:[2,2,2,2] row_mask:0xf bank_mask:0xf// 000000022E74: 0BECECFA FF00AAFD
	v_mul_f32_dpp v247, v253, v119 quad_perm:[3,3,3,3] row_mask:0xf bank_mask:0xf// 000000022E7C: 0BEEEEFA FF00FFFD
	v_mul_f32_dpp v248, v254, v120 quad_perm:[0,0,0,0] row_mask:0xf bank_mask:0xf// 000000022E84: 0BF0F0FA FF0000FE
	v_mul_f32_dpp v249, v254, v121 quad_perm:[1,1,1,1] row_mask:0xf bank_mask:0xf// 000000022E8C: 0BF2F2FA FF0055FE
	v_mul_f32_dpp v250, v254, v122 quad_perm:[2,2,2,2] row_mask:0xf bank_mask:0xf// 000000022E94: 0BF4F4FA FF00AAFE
	v_mul_f32_dpp v251, v254, v123 quad_perm:[3,3,3,3] row_mask:0xf bank_mask:0xf// 000000022E9C: 0BF6F6FA FF00FFFE
	v_mul_f32_dpp v252, v255, v124 quad_perm:[0,0,0,0] row_mask:0xf bank_mask:0xf// 000000022EA4: 0BF8F8FA FF0000FF
	v_mul_f32_dpp v253, v255, v125 quad_perm:[1,1,1,1] row_mask:0xf bank_mask:0xf// 000000022EAC: 0BFAFAFA FF0055FF
	v_mul_f32_dpp v254, v255, v126 quad_perm:[2,2,2,2] row_mask:0xf bank_mask:0xf// 000000022EB4: 0BFCFCFA FF00AAFF
	v_mul_f32_dpp v255, v255, v127 quad_perm:[3,3,3,3] row_mask:0xf bank_mask:0xf// 000000022EBC: 0BFEFEFA FF00FFFF
	v_mov_b32_e32 v48, 0x358637bd                              // 000000022EC4: 7E6002FF 358637BD
	v_max3_f32 v48, |v240|, |v241|, v48                        // 000000022ECC: D1D30330 04C3E3F0
	v_max3_f32 v48, |v242|, |v243|, v48                        // 000000022ED4: D1D30330 04C3E7F2
	v_max3_f32 v48, |v244|, |v245|, v48                        // 000000022EDC: D1D30330 04C3EBF4
	v_max3_f32 v48, |v246|, |v247|, v48                        // 000000022EE4: D1D30330 04C3EFF6
	v_max3_f32 v48, |v248|, |v249|, v48                        // 000000022EEC: D1D30330 04C3F3F8
	v_max3_f32 v48, |v250|, |v251|, v48                        // 000000022EF4: D1D30330 04C3F7FA
	v_max3_f32 v48, |v252|, |v253|, v48                        // 000000022EFC: D1D30330 04C3FBFC
	v_max3_f32 v48, |v254|, |v255|, v48                        // 000000022F04: D1D30330 04C3FFFE
	buffer_load_dwordx4 a[76:79], v33, s[20:23], 0 offen       // 000000022F0C: E05C1000 80854C21
	ds_write_b32 v8, v48 offset:20992                          // 000000022F14: D81A5200 00003008
	v_sub_f32_e32 v49, v11, v15                                // 000000022F1C: 04621F0B
	v_cndmask_b32_e64 v49, v49, 0, s[40:41]                    // 000000022F20: D1000031 00A10131
	v_mov_b32_e32 v11, v15                                     // 000000022F28: 7E16030F
	v_mul_f32_e32 v49, s64, v49                                // 000000022F2C: 0A626240
	v_exp_f32_e32 v49, v49                                     // 000000022F30: 7E624131
	s_waitcnt lgkmcnt(0)                                       // 000000022F34: BF8CC07F
	s_barrier                                                  // 000000022F38: BF8A0000
	ds_read_b32 v64, v7 offset:20992                           // 000000022F3C: D86C5200 40000007
	ds_read_b32 v65, v7 offset:21056                           // 000000022F44: D86C5240 41000007
	ds_read_b32 v66, v7 offset:21120                           // 000000022F4C: D86C5280 42000007
	ds_read_b32 v67, v7 offset:21184                           // 000000022F54: D86C52C0 43000007
	ds_read_b32 v68, v7 offset:21248                           // 000000022F5C: D86C5300 44000007
	ds_read_b32 v69, v7 offset:21312                           // 000000022F64: D86C5340 45000007
	ds_read_b32 v70, v7 offset:21376                           // 000000022F6C: D86C5380 46000007
	ds_read_b32 v71, v7 offset:21440                           // 000000022F74: D86C53C0 47000007
	ds_read_b32 v72, v7 offset:21504                           // 000000022F7C: D86C5400 48000007
	ds_read_b32 v73, v7 offset:21568                           // 000000022F84: D86C5440 49000007
	ds_read_b32 v74, v7 offset:21632                           // 000000022F8C: D86C5480 4A000007
	ds_read_b32 v75, v7 offset:21696                           // 000000022F94: D86C54C0 4B000007
	ds_read_b32 v76, v7 offset:21760                           // 000000022F9C: D86C5500 4C000007
	ds_read_b32 v77, v7 offset:21824                           // 000000022FA4: D86C5540 4D000007
	ds_read_b32 v78, v7 offset:21888                           // 000000022FAC: D86C5580 4E000007
	ds_read_b32 v79, v7 offset:21952                           // 000000022FB4: D86C55C0 4F000007
	v_mul_f32_e32 v38, v49, v38                                // 000000022FBC: 0A4C4D31
	v_mov_b32_e32 v15, v112                                    // 000000022FC0: 7E1E0370
	v_add_f32_e32 v15, v113, v15                               // 000000022FC4: 021E1F71
	v_add_f32_e32 v15, v114, v15                               // 000000022FC8: 021E1F72
	v_add_f32_e32 v15, v115, v15                               // 000000022FCC: 021E1F73
	v_add_f32_e32 v15, v116, v15                               // 000000022FD0: 021E1F74
	v_add_f32_e32 v15, v117, v15                               // 000000022FD4: 021E1F75
	v_add_f32_e32 v15, v118, v15                               // 000000022FD8: 021E1F76
	v_add_f32_e32 v15, v119, v15                               // 000000022FDC: 021E1F77
	v_add_f32_e32 v15, v120, v15                               // 000000022FE0: 021E1F78
	v_add_f32_e32 v15, v121, v15                               // 000000022FE4: 021E1F79
	v_add_f32_e32 v15, v122, v15                               // 000000022FE8: 021E1F7A
	v_add_f32_e32 v15, v123, v15                               // 000000022FEC: 021E1F7B
	v_add_f32_e32 v15, v124, v15                               // 000000022FF0: 021E1F7C
	v_add_f32_e32 v15, v125, v15                               // 000000022FF4: 021E1F7D
	v_add_f32_e32 v15, v126, v15                               // 000000022FF8: 021E1F7E
	v_add_f32_e32 v15, v127, v15                               // 000000022FFC: 021E1F7F
	v_add_f32_e32 v38, v15, v38                                // 000000023000: 024C4D0F
	s_waitcnt lgkmcnt(0)                                       // 000000023004: BF8CC07F
	v_max3_f32 v48, |v64|, |v65|, v48                          // 000000023008: D1D30330 04C28340
	v_max3_f32 v48, |v66|, |v67|, v48                          // 000000023010: D1D30330 04C28742
	v_max3_f32 v48, |v68|, |v69|, v48                          // 000000023018: D1D30330 04C28B44
	v_max3_f32 v48, |v70|, |v71|, v48                          // 000000023020: D1D30330 04C28F46
	v_max3_f32 v48, |v72|, |v73|, v48                          // 000000023028: D1D30330 04C29348
	v_max3_f32 v48, |v74|, |v75|, v48                          // 000000023030: D1D30330 04C2974A
	v_max3_f32 v48, |v76|, |v77|, v48                          // 000000023038: D1D30330 04C29B4C
	v_max3_f32 v48, |v78|, |v79|, v48                          // 000000023040: D1D30330 04C29F4E
	s_nop 2                                                    // 000000023048: BF800002
	v_rcp_f32_e32 v48, v48                                     // 00000002304C: 7E604530
	s_nop 1                                                    // 000000023050: BF800001
	v_mul_f32_e32 v48, 0x42fe0000, v48                         // 000000023054: 0A6060FF 42FE0000
	v_mul_f32_e32 v112, v48, v240                              // 00000002305C: 0AE1E130
	v_mul_f32_e32 v113, v48, v241                              // 000000023060: 0AE3E330
	v_mul_f32_e32 v114, v48, v242                              // 000000023064: 0AE5E530
	v_mul_f32_e32 v115, v48, v243                              // 000000023068: 0AE7E730
	v_mul_f32_e32 v116, v48, v244                              // 00000002306C: 0AE9E930
	v_mul_f32_e32 v117, v48, v245                              // 000000023070: 0AEBEB30
	v_mul_f32_e32 v118, v48, v246                              // 000000023074: 0AEDED30
	v_mul_f32_e32 v119, v48, v247                              // 000000023078: 0AEFEF30
	v_mul_f32_e32 v120, v48, v248                              // 00000002307C: 0AF1F130
	v_mul_f32_e32 v121, v48, v249                              // 000000023080: 0AF3F330
	v_mul_f32_e32 v122, v48, v250                              // 000000023084: 0AF5F530
	v_mul_f32_e32 v123, v48, v251                              // 000000023088: 0AF7F730
	v_mul_f32_e32 v124, v48, v252                              // 00000002308C: 0AF9F930
	v_mul_f32_e32 v125, v48, v253                              // 000000023090: 0AFBFB30
	v_mul_f32_e32 v126, v48, v254                              // 000000023094: 0AFDFD30
	v_mul_f32_e32 v127, v48, v255                              // 000000023098: 0AFFFF30
	v_cvt_i32_f32_e32 v112, v112                               // 00000002309C: 7EE01170
	v_cvt_i32_f32_e32 v113, v113                               // 0000000230A0: 7EE21171
	v_cvt_i32_f32_e32 v114, v114                               // 0000000230A4: 7EE41172
	v_cvt_i32_f32_e32 v115, v115                               // 0000000230A8: 7EE61173
	v_cvt_i32_f32_e32 v116, v116                               // 0000000230AC: 7EE81174
	v_cvt_i32_f32_e32 v117, v117                               // 0000000230B0: 7EEA1175
	v_cvt_i32_f32_e32 v118, v118                               // 0000000230B4: 7EEC1176
	v_cvt_i32_f32_e32 v119, v119                               // 0000000230B8: 7EEE1177
	v_cvt_i32_f32_e32 v120, v120                               // 0000000230BC: 7EF01178
	v_cvt_i32_f32_e32 v121, v121                               // 0000000230C0: 7EF21179
	v_cvt_i32_f32_e32 v122, v122                               // 0000000230C4: 7EF4117A
	v_cvt_i32_f32_e32 v123, v123                               // 0000000230C8: 7EF6117B
	v_cvt_i32_f32_e32 v124, v124                               // 0000000230CC: 7EF8117C
	v_cvt_i32_f32_e32 v125, v125                               // 0000000230D0: 7EFA117D
	v_cvt_i32_f32_e32 v126, v126                               // 0000000230D4: 7EFC117E
	v_cvt_i32_f32_e32 v127, v127                               // 0000000230D8: 7EFE117F
	v_perm_b32 v112, v113, v112, s53                           // 0000000230DC: D1ED0070 00D6E171
	v_perm_b32 v112, v114, v112, s54                           // 0000000230E4: D1ED0070 00DAE172
	v_perm_b32 v112, v115, v112, s55                           // 0000000230EC: D1ED0070 00DEE173
	v_perm_b32 v113, v117, v116, s53                           // 0000000230F4: D1ED0071 00D6E975
	v_perm_b32 v113, v118, v113, s54                           // 0000000230FC: D1ED0071 00DAE376
	v_perm_b32 v113, v119, v113, s55                           // 000000023104: D1ED0071 00DEE377
	v_perm_b32 v114, v121, v120, s53                           // 00000002310C: D1ED0072 00D6F179
	v_perm_b32 v114, v122, v114, s54                           // 000000023114: D1ED0072 00DAE57A
	v_perm_b32 v114, v123, v114, s55                           // 00000002311C: D1ED0072 00DEE57B
	v_perm_b32 v115, v125, v124, s53                           // 000000023124: D1ED0073 00D6F97D
	v_perm_b32 v115, v126, v115, s54                           // 00000002312C: D1ED0073 00DAE77E
	v_perm_b32 v115, v127, v115, s55                           // 000000023134: D1ED0073 00DEE77F
	ds_write_b32 v10, v112 offset:25088                        // 00000002313C: D81A6200 0000700A
	ds_write_b32 v10, v113 offset:26112                        // 000000023144: D81A6600 0000710A
	ds_write_b32 v10, v114 offset:27136                        // 00000002314C: D81A6A00 0000720A
	ds_write_b32 v10, v115 offset:28160                        // 000000023154: D81A6E00 0000730A
	v_add_f32_e32 v208, v208, v176                             // 00000002315C: 03A161D0
	v_add_f32_e32 v209, v209, v177                             // 000000023160: 03A363D1
	v_add_f32_e32 v210, v210, v178                             // 000000023164: 03A565D2
	v_add_f32_e32 v211, v211, v179                             // 000000023168: 03A767D3
	v_add_f32_e32 v212, v212, v180                             // 00000002316C: 03A969D4
	v_add_f32_e32 v213, v213, v181                             // 000000023170: 03AB6BD5
	v_add_f32_e32 v214, v214, v182                             // 000000023174: 03AD6DD6
	v_add_f32_e32 v215, v215, v183                             // 000000023178: 03AF6FD7
	v_rcp_f32_e32 v44, v48                                     // 00000002317C: 7E584530
	s_waitcnt lgkmcnt(0)                                       // 000000023180: BF8CC07F
	s_barrier                                                  // 000000023184: BF8A0000
	ds_read_b64 v[112:113], v9 offset:25088                    // 000000023188: D8EC6200 70000009
	ds_read_b64 v[114:115], v9 offset:25216                    // 000000023190: D8EC6280 72000009
	ds_read_b64 v[116:117], v9 offset:26112                    // 000000023198: D8EC6600 74000009
	ds_read_b64 v[118:119], v9 offset:26240                    // 0000000231A0: D8EC6680 76000009
	ds_read_b64 v[120:121], v9 offset:27136                    // 0000000231A8: D8EC6A00 78000009
	ds_read_b64 v[122:123], v9 offset:27264                    // 0000000231B0: D8EC6A80 7A000009
	ds_read_b64 v[124:125], v9 offset:28160                    // 0000000231B8: D8EC6E00 7C000009
	ds_read_b64 v[126:127], v9 offset:28288                    // 0000000231C0: D8EC6E80 7E000009
	v_mov_b32_dpp v64, v43 row_shr:4 row_mask:0xf bank_mask:0xf// 0000000231C8: 7E8002FA FF01142B
	v_mov_b32_dpp v65, v43 row_shl:4 row_mask:0xf bank_mask:0xf// 0000000231D0: 7E8202FA FF01042B
	v_cndmask_b32_e64 v248, v43, v64, s[44:45]                 // 0000000231D8: D10000F8 00B2812B
	v_cndmask_b32_e64 v249, v65, v43, s[44:45]                 // 0000000231E0: D10000F9 00B25741
	v_mov_b32_dpp v64, v248 row_shr:8 row_mask:0xf bank_mask:0xf// 0000000231E8: 7E8002FA FF0118F8
	v_mov_b32_dpp v65, v248 row_shl:8 row_mask:0xf bank_mask:0xf// 0000000231F0: 7E8202FA FF0108F8
	v_mov_b32_dpp v66, v249 row_shr:8 row_mask:0xf bank_mask:0xf// 0000000231F8: 7E8402FA FF0118F9
	v_mov_b32_dpp v67, v249 row_shl:8 row_mask:0xf bank_mask:0xf// 000000023200: 7E8602FA FF0108F9
	v_mov_b32_e32 v68, v248                                    // 000000023208: 7E8803F8
	v_mov_b32_e32 v69, v249                                    // 00000002320C: 7E8A03F9
	v_cndmask_b32_e64 v248, v68, v64, s[42:43]                 // 000000023210: D10000F8 00AA8144
	v_cndmask_b32_e64 v250, v68, v65, s[78:79]                 // 000000023218: D10000FA 013A8344
	v_cndmask_b32_e64 v249, v69, v66, s[42:43]                 // 000000023220: D10000F9 00AA8545
	v_cndmask_b32_e64 v251, v69, v67, s[78:79]                 // 000000023228: D10000FB 013A8745
	v_mov_b32_dpp v64, v58 row_shr:4 row_mask:0xf bank_mask:0xf// 000000023230: 7E8002FA FF01143A
	v_mov_b32_dpp v65, v58 row_shl:4 row_mask:0xf bank_mask:0xf// 000000023238: 7E8202FA FF01043A
	v_cndmask_b32_e64 v252, v58, v64, s[44:45]                 // 000000023240: D10000FC 00B2813A
	v_cndmask_b32_e64 v253, v65, v58, s[44:45]                 // 000000023248: D10000FD 00B27541
	v_mov_b32_dpp v64, v252 row_shr:8 row_mask:0xf bank_mask:0xf// 000000023250: 7E8002FA FF0118FC
	v_mov_b32_dpp v65, v252 row_shl:8 row_mask:0xf bank_mask:0xf// 000000023258: 7E8202FA FF0108FC
	v_mov_b32_dpp v66, v253 row_shr:8 row_mask:0xf bank_mask:0xf// 000000023260: 7E8402FA FF0118FD
	v_mov_b32_dpp v67, v253 row_shl:8 row_mask:0xf bank_mask:0xf// 000000023268: 7E8602FA FF0108FD
	v_mov_b32_e32 v68, v252                                    // 000000023270: 7E8803FC
	v_mov_b32_e32 v69, v253                                    // 000000023274: 7E8A03FD
	v_cndmask_b32_e64 v252, v68, v64, s[42:43]                 // 000000023278: D10000FC 00AA8144
	v_cndmask_b32_e64 v254, v68, v65, s[78:79]                 // 000000023280: D10000FE 013A8344
	v_cndmask_b32_e64 v253, v69, v66, s[42:43]                 // 000000023288: D10000FD 00AA8545
	v_cndmask_b32_e64 v255, v69, v67, s[78:79]                 // 000000023290: D10000FF 013A8745
	v_cvt_f32_i32_e32 v128, v128                               // 000000023298: 7F000B80
	v_cvt_f32_i32_e32 v129, v129                               // 00000002329C: 7F020B81
	v_cvt_f32_i32_e32 v130, v130                               // 0000000232A0: 7F040B82
	v_cvt_f32_i32_e32 v131, v131                               // 0000000232A4: 7F060B83
	v_cvt_f32_i32_e32 v132, v132                               // 0000000232A8: 7F080B84
	v_cvt_f32_i32_e32 v133, v133                               // 0000000232AC: 7F0A0B85
	v_cvt_f32_i32_e32 v134, v134                               // 0000000232B0: 7F0C0B86
	v_cvt_f32_i32_e32 v135, v135                               // 0000000232B4: 7F0E0B87
	v_cvt_f32_i32_e32 v136, v136                               // 0000000232B8: 7F100B88
	v_cvt_f32_i32_e32 v137, v137                               // 0000000232BC: 7F120B89
	v_cvt_f32_i32_e32 v138, v138                               // 0000000232C0: 7F140B8A
	v_cvt_f32_i32_e32 v139, v139                               // 0000000232C4: 7F160B8B
	v_cvt_f32_i32_e32 v140, v140                               // 0000000232C8: 7F180B8C
	v_cvt_f32_i32_e32 v141, v141                               // 0000000232CC: 7F1A0B8D
	v_cvt_f32_i32_e32 v142, v142                               // 0000000232D0: 7F1C0B8E
	v_cvt_f32_i32_e32 v143, v143                               // 0000000232D4: 7F1E0B8F
	v_mul_f32_e32 v128, v19, v128                              // 0000000232D8: 0B010113
	v_mul_f32_e32 v129, v19, v129                              // 0000000232DC: 0B030313
	v_mul_f32_e32 v130, v19, v130                              // 0000000232E0: 0B050513
	v_mul_f32_e32 v131, v19, v131                              // 0000000232E4: 0B070713
	v_mul_f32_e32 v132, v19, v132                              // 0000000232E8: 0B090913
	v_mul_f32_e32 v133, v19, v133                              // 0000000232EC: 0B0B0B13
	v_mul_f32_e32 v134, v19, v134                              // 0000000232F0: 0B0D0D13
	v_mul_f32_e32 v135, v19, v135                              // 0000000232F4: 0B0F0F13
	v_mul_f32_e32 v136, v19, v136                              // 0000000232F8: 0B111113
	v_mul_f32_e32 v137, v19, v137                              // 0000000232FC: 0B131313
	v_mul_f32_e32 v138, v19, v138                              // 000000023300: 0B151513
	v_mul_f32_e32 v139, v19, v139                              // 000000023304: 0B171713
	v_mul_f32_e32 v140, v19, v140                              // 000000023308: 0B191913
	v_mul_f32_e32 v141, v19, v141                              // 00000002330C: 0B1B1B13
	v_mul_f32_e32 v142, v19, v142                              // 000000023310: 0B1D1D13
	v_mul_f32_e32 v143, v19, v143                              // 000000023314: 0B1F1F13
	v_mul_f32_dpp v128, v248, v128 quad_perm:[0,0,0,0] row_mask:0xf bank_mask:0xf// 000000023318: 0B0100FA FF0000F8
	v_mul_f32_dpp v129, v248, v129 quad_perm:[1,1,1,1] row_mask:0xf bank_mask:0xf// 000000023320: 0B0302FA FF0055F8
	v_mul_f32_dpp v130, v248, v130 quad_perm:[2,2,2,2] row_mask:0xf bank_mask:0xf// 000000023328: 0B0504FA FF00AAF8
	v_mul_f32_dpp v131, v248, v131 quad_perm:[3,3,3,3] row_mask:0xf bank_mask:0xf// 000000023330: 0B0706FA FF00FFF8
	v_mul_f32_dpp v132, v249, v132 quad_perm:[0,0,0,0] row_mask:0xf bank_mask:0xf// 000000023338: 0B0908FA FF0000F9
	v_mul_f32_dpp v133, v249, v133 quad_perm:[1,1,1,1] row_mask:0xf bank_mask:0xf// 000000023340: 0B0B0AFA FF0055F9
	v_mul_f32_dpp v134, v249, v134 quad_perm:[2,2,2,2] row_mask:0xf bank_mask:0xf// 000000023348: 0B0D0CFA FF00AAF9
	v_mul_f32_dpp v135, v249, v135 quad_perm:[3,3,3,3] row_mask:0xf bank_mask:0xf// 000000023350: 0B0F0EFA FF00FFF9
	v_mul_f32_dpp v136, v250, v136 quad_perm:[0,0,0,0] row_mask:0xf bank_mask:0xf// 000000023358: 0B1110FA FF0000FA
	v_mul_f32_dpp v137, v250, v137 quad_perm:[1,1,1,1] row_mask:0xf bank_mask:0xf// 000000023360: 0B1312FA FF0055FA
	v_mul_f32_dpp v138, v250, v138 quad_perm:[2,2,2,2] row_mask:0xf bank_mask:0xf// 000000023368: 0B1514FA FF00AAFA
	v_mul_f32_dpp v139, v250, v139 quad_perm:[3,3,3,3] row_mask:0xf bank_mask:0xf// 000000023370: 0B1716FA FF00FFFA
	v_mul_f32_dpp v140, v251, v140 quad_perm:[0,0,0,0] row_mask:0xf bank_mask:0xf// 000000023378: 0B1918FA FF0000FB
	v_mul_f32_dpp v141, v251, v141 quad_perm:[1,1,1,1] row_mask:0xf bank_mask:0xf// 000000023380: 0B1B1AFA FF0055FB
	v_mul_f32_dpp v142, v251, v142 quad_perm:[2,2,2,2] row_mask:0xf bank_mask:0xf// 000000023388: 0B1D1CFA FF00AAFB
	v_mul_f32_dpp v143, v251, v143 quad_perm:[3,3,3,3] row_mask:0xf bank_mask:0xf// 000000023390: 0B1F1EFA FF00FFFB
	v_mov_b32_e32 v48, v128                                    // 000000023398: 7E600380
	v_max3_f32 v48, v128, v129, v48                            // 00000002339C: D1D30030 04C30380
	v_max3_f32 v48, v130, v131, v48                            // 0000000233A4: D1D30030 04C30782
	v_max3_f32 v48, v132, v133, v48                            // 0000000233AC: D1D30030 04C30B84
	v_max3_f32 v48, v134, v135, v48                            // 0000000233B4: D1D30030 04C30F86
	v_max3_f32 v48, v136, v137, v48                            // 0000000233BC: D1D30030 04C31388
	v_max3_f32 v48, v138, v139, v48                            // 0000000233C4: D1D30030 04C3178A
	v_max3_f32 v48, v140, v141, v48                            // 0000000233CC: D1D30030 04C31B8C
	v_max3_f32 v48, v142, v143, v48                            // 0000000233D4: D1D30030 04C31F8E
	ds_write_b32 v8, v48 offset:16896                          // 0000000233DC: D81A4200 00003008
	v_mul_f32_e32 v216, v50, v216                              // 0000000233E4: 0BB1B132
	v_mul_f32_e32 v217, v50, v217                              // 0000000233E8: 0BB3B332
	v_mul_f32_e32 v218, v50, v218                              // 0000000233EC: 0BB5B532
	v_mul_f32_e32 v219, v50, v219                              // 0000000233F0: 0BB7B732
	v_mul_f32_e32 v220, v50, v220                              // 0000000233F4: 0BB9B932
	v_mul_f32_e32 v221, v50, v221                              // 0000000233F8: 0BBBBB32
	v_mul_f32_e32 v222, v50, v222                              // 0000000233FC: 0BBDBD32
	v_mul_f32_e32 v223, v50, v223                              // 000000023400: 0BBFBF32
	s_waitcnt lgkmcnt(0)                                       // 000000023404: BF8CC07F
	s_barrier                                                  // 000000023408: BF8A0000
	ds_read_b32 v64, v7 offset:16896                           // 00000002340C: D86C4200 40000007
	ds_read_b32 v65, v7 offset:16960                           // 000000023414: D86C4240 41000007
	ds_read_b32 v66, v7 offset:17024                           // 00000002341C: D86C4280 42000007
	ds_read_b32 v67, v7 offset:17088                           // 000000023424: D86C42C0 43000007
	ds_read_b32 v68, v7 offset:17152                           // 00000002342C: D86C4300 44000007
	ds_read_b32 v69, v7 offset:17216                           // 000000023434: D86C4340 45000007
	ds_read_b32 v70, v7 offset:17280                           // 00000002343C: D86C4380 46000007
	ds_read_b32 v71, v7 offset:17344                           // 000000023444: D86C43C0 47000007
	ds_read_b32 v72, v7 offset:17408                           // 00000002344C: D86C4400 48000007
	ds_read_b32 v73, v7 offset:17472                           // 000000023454: D86C4440 49000007
	ds_read_b32 v74, v7 offset:17536                           // 00000002345C: D86C4480 4A000007
	ds_read_b32 v75, v7 offset:17600                           // 000000023464: D86C44C0 4B000007
	ds_read_b32 v76, v7 offset:17664                           // 00000002346C: D86C4500 4C000007
	ds_read_b32 v77, v7 offset:17728                           // 000000023474: D86C4540 4D000007
	ds_read_b32 v78, v7 offset:17792                           // 00000002347C: D86C4580 4E000007
	ds_read_b32 v79, v7 offset:17856                           // 000000023484: D86C45C0 4F000007
	v_cvt_f32_i32_e32 v184, v184                               // 00000002348C: 7F700BB8
	v_cvt_f32_i32_e32 v185, v185                               // 000000023490: 7F720BB9
	v_cvt_f32_i32_e32 v186, v186                               // 000000023494: 7F740BBA
	v_cvt_f32_i32_e32 v187, v187                               // 000000023498: 7F760BBB
	v_cvt_f32_i32_e32 v188, v188                               // 00000002349C: 7F780BBC
	v_cvt_f32_i32_e32 v189, v189                               // 0000000234A0: 7F7A0BBD
	v_cvt_f32_i32_e32 v190, v190                               // 0000000234A4: 7F7C0BBE
	v_cvt_f32_i32_e32 v191, v191                               // 0000000234A8: 7F7E0BBF
	v_mul_f32_e32 v184, v45, v184                              // 0000000234AC: 0B71712D
	v_mul_f32_e32 v185, v45, v185                              // 0000000234B0: 0B73732D
	v_mul_f32_e32 v186, v45, v186                              // 0000000234B4: 0B75752D
	v_mul_f32_e32 v187, v45, v187                              // 0000000234B8: 0B77772D
	v_mul_f32_e32 v188, v45, v188                              // 0000000234BC: 0B79792D
	v_mul_f32_e32 v189, v45, v189                              // 0000000234C0: 0B7B7B2D
	v_mul_f32_e32 v190, v45, v190                              // 0000000234C4: 0B7D7D2D
	v_mul_f32_e32 v191, v45, v191                              // 0000000234C8: 0B7F7F2D
	s_waitcnt lgkmcnt(0)                                       // 0000000234CC: BF8CC07F
	v_max3_f32 v48, v64, v65, v48                              // 0000000234D0: D1D30030 04C28340
	v_max3_f32 v48, v66, v67, v48                              // 0000000234D8: D1D30030 04C28742
	v_max3_f32 v48, v68, v69, v48                              // 0000000234E0: D1D30030 04C28B44
	v_max3_f32 v48, v70, v71, v48                              // 0000000234E8: D1D30030 04C28F46
	v_max3_f32 v48, v72, v73, v48                              // 0000000234F0: D1D30030 04C29348
	v_max3_f32 v48, v74, v75, v48                              // 0000000234F8: D1D30030 04C2974A
	v_max3_f32 v48, v76, v77, v48                              // 000000023500: D1D30030 04C29B4C
	v_max3_f32 v48, v78, v79, v48                              // 000000023508: D1D30030 04C29F4E
	v_mov_b32_e32 v64, 0xff800000                              // 000000023510: 7E8002FF FF800000
	v_cmp_eq_u32_e64 s[40:41], v64, v12                        // 000000023518: D0CA0028 00021940
	s_nop 1                                                    // 000000023520: BF800001
	v_max_f32_e32 v15, v48, v12                                // 000000023524: 161E1930
	v_mul_f32_e32 v53, s64, v15                                // 000000023528: 0A6A1E40
	v_fma_f32 v128, v128, s64, -v53                            // 00000002352C: D1CB0080 84D48180
	v_fma_f32 v129, v129, s64, -v53                            // 000000023534: D1CB0081 84D48181
	v_fma_f32 v130, v130, s64, -v53                            // 00000002353C: D1CB0082 84D48182
	v_fma_f32 v131, v131, s64, -v53                            // 000000023544: D1CB0083 84D48183
	v_fma_f32 v132, v132, s64, -v53                            // 00000002354C: D1CB0084 84D48184
	v_fma_f32 v133, v133, s64, -v53                            // 000000023554: D1CB0085 84D48185
	v_fma_f32 v134, v134, s64, -v53                            // 00000002355C: D1CB0086 84D48186
	v_fma_f32 v135, v135, s64, -v53                            // 000000023564: D1CB0087 84D48187
	v_fma_f32 v136, v136, s64, -v53                            // 00000002356C: D1CB0088 84D48188
	v_fma_f32 v137, v137, s64, -v53                            // 000000023574: D1CB0089 84D48189
	v_fma_f32 v138, v138, s64, -v53                            // 00000002357C: D1CB008A 84D4818A
	v_fma_f32 v139, v139, s64, -v53                            // 000000023584: D1CB008B 84D4818B
	v_fma_f32 v140, v140, s64, -v53                            // 00000002358C: D1CB008C 84D4818C
	v_fma_f32 v141, v141, s64, -v53                            // 000000023594: D1CB008D 84D4818D
	v_fma_f32 v142, v142, s64, -v53                            // 00000002359C: D1CB008E 84D4818E
	v_fma_f32 v143, v143, s64, -v53                            // 0000000235A4: D1CB008F 84D4818F
	v_exp_f32_e32 v128, v128                                   // 0000000235AC: 7F004180
	v_exp_f32_e32 v129, v129                                   // 0000000235B0: 7F024181
	v_exp_f32_e32 v130, v130                                   // 0000000235B4: 7F044182
	v_exp_f32_e32 v131, v131                                   // 0000000235B8: 7F064183
	v_exp_f32_e32 v132, v132                                   // 0000000235BC: 7F084184
	v_exp_f32_e32 v133, v133                                   // 0000000235C0: 7F0A4185
	v_exp_f32_e32 v134, v134                                   // 0000000235C4: 7F0C4186
	v_exp_f32_e32 v135, v135                                   // 0000000235C8: 7F0E4187
	v_exp_f32_e32 v136, v136                                   // 0000000235CC: 7F104188
	v_exp_f32_e32 v137, v137                                   // 0000000235D0: 7F124189
	v_exp_f32_e32 v138, v138                                   // 0000000235D4: 7F14418A
	v_exp_f32_e32 v139, v139                                   // 0000000235D8: 7F16418B
	v_exp_f32_e32 v140, v140                                   // 0000000235DC: 7F18418C
	v_exp_f32_e32 v141, v141                                   // 0000000235E0: 7F1A418D
	v_exp_f32_e32 v142, v142                                   // 0000000235E4: 7F1C418E
	v_exp_f32_e32 v143, v143                                   // 0000000235E8: 7F1E418F
	v_mul_f32_dpp v240, v252, v128 quad_perm:[0,0,0,0] row_mask:0xf bank_mask:0xf// 0000000235EC: 0BE100FA FF0000FC
	v_mul_f32_dpp v241, v252, v129 quad_perm:[1,1,1,1] row_mask:0xf bank_mask:0xf// 0000000235F4: 0BE302FA FF0055FC
	v_mul_f32_dpp v242, v252, v130 quad_perm:[2,2,2,2] row_mask:0xf bank_mask:0xf// 0000000235FC: 0BE504FA FF00AAFC
	v_mul_f32_dpp v243, v252, v131 quad_perm:[3,3,3,3] row_mask:0xf bank_mask:0xf// 000000023604: 0BE706FA FF00FFFC
	v_mul_f32_dpp v244, v253, v132 quad_perm:[0,0,0,0] row_mask:0xf bank_mask:0xf// 00000002360C: 0BE908FA FF0000FD
	v_mul_f32_dpp v245, v253, v133 quad_perm:[1,1,1,1] row_mask:0xf bank_mask:0xf// 000000023614: 0BEB0AFA FF0055FD
	v_mul_f32_dpp v246, v253, v134 quad_perm:[2,2,2,2] row_mask:0xf bank_mask:0xf// 00000002361C: 0BED0CFA FF00AAFD
	v_mul_f32_dpp v247, v253, v135 quad_perm:[3,3,3,3] row_mask:0xf bank_mask:0xf// 000000023624: 0BEF0EFA FF00FFFD
	v_mul_f32_dpp v248, v254, v136 quad_perm:[0,0,0,0] row_mask:0xf bank_mask:0xf// 00000002362C: 0BF110FA FF0000FE
	v_mul_f32_dpp v249, v254, v137 quad_perm:[1,1,1,1] row_mask:0xf bank_mask:0xf// 000000023634: 0BF312FA FF0055FE
	v_mul_f32_dpp v250, v254, v138 quad_perm:[2,2,2,2] row_mask:0xf bank_mask:0xf// 00000002363C: 0BF514FA FF00AAFE
	v_mul_f32_dpp v251, v254, v139 quad_perm:[3,3,3,3] row_mask:0xf bank_mask:0xf// 000000023644: 0BF716FA FF00FFFE
	v_mul_f32_dpp v252, v255, v140 quad_perm:[0,0,0,0] row_mask:0xf bank_mask:0xf// 00000002364C: 0BF918FA FF0000FF
	v_mul_f32_dpp v253, v255, v141 quad_perm:[1,1,1,1] row_mask:0xf bank_mask:0xf// 000000023654: 0BFB1AFA FF0055FF
	v_mul_f32_dpp v254, v255, v142 quad_perm:[2,2,2,2] row_mask:0xf bank_mask:0xf// 00000002365C: 0BFD1CFA FF00AAFF
	v_mul_f32_dpp v255, v255, v143 quad_perm:[3,3,3,3] row_mask:0xf bank_mask:0xf// 000000023664: 0BFF1EFA FF00FFFF
	v_mov_b32_e32 v48, 0x358637bd                              // 00000002366C: 7E6002FF 358637BD
	v_max3_f32 v48, |v240|, |v241|, v48                        // 000000023674: D1D30330 04C3E3F0
	v_max3_f32 v48, |v242|, |v243|, v48                        // 00000002367C: D1D30330 04C3E7F2
	v_max3_f32 v48, |v244|, |v245|, v48                        // 000000023684: D1D30330 04C3EBF4
	v_max3_f32 v48, |v246|, |v247|, v48                        // 00000002368C: D1D30330 04C3EFF6
	v_max3_f32 v48, |v248|, |v249|, v48                        // 000000023694: D1D30330 04C3F3F8
	v_max3_f32 v48, |v250|, |v251|, v48                        // 00000002369C: D1D30330 04C3F7FA
	v_max3_f32 v48, |v252|, |v253|, v48                        // 0000000236A4: D1D30330 04C3FBFC
	v_max3_f32 v48, |v254|, |v255|, v48                        // 0000000236AC: D1D30330 04C3FFFE
	ds_write_b32 v8, v48 offset:20992                          // 0000000236B4: D81A5200 00003008
	v_sub_f32_e32 v50, v12, v15                                // 0000000236BC: 04641F0C
	v_cndmask_b32_e64 v50, v50, 0, s[40:41]                    // 0000000236C0: D1000032 00A10132
	v_mov_b32_e32 v12, v15                                     // 0000000236C8: 7E18030F
	v_mul_f32_e32 v50, s64, v50                                // 0000000236CC: 0A646440
	v_exp_f32_e32 v50, v50                                     // 0000000236D0: 7E644132
	s_waitcnt lgkmcnt(0)                                       // 0000000236D4: BF8CC07F
	s_barrier                                                  // 0000000236D8: BF8A0000
	ds_read_b32 v64, v7 offset:20992                           // 0000000236DC: D86C5200 40000007
	ds_read_b32 v65, v7 offset:21056                           // 0000000236E4: D86C5240 41000007
	ds_read_b32 v66, v7 offset:21120                           // 0000000236EC: D86C5280 42000007
	ds_read_b32 v67, v7 offset:21184                           // 0000000236F4: D86C52C0 43000007
	ds_read_b32 v68, v7 offset:21248                           // 0000000236FC: D86C5300 44000007
	ds_read_b32 v69, v7 offset:21312                           // 000000023704: D86C5340 45000007
	ds_read_b32 v70, v7 offset:21376                           // 00000002370C: D86C5380 46000007
	ds_read_b32 v71, v7 offset:21440                           // 000000023714: D86C53C0 47000007
	ds_read_b32 v72, v7 offset:21504                           // 00000002371C: D86C5400 48000007
	ds_read_b32 v73, v7 offset:21568                           // 000000023724: D86C5440 49000007
	ds_read_b32 v74, v7 offset:21632                           // 00000002372C: D86C5480 4A000007
	ds_read_b32 v75, v7 offset:21696                           // 000000023734: D86C54C0 4B000007
	ds_read_b32 v76, v7 offset:21760                           // 00000002373C: D86C5500 4C000007
	ds_read_b32 v77, v7 offset:21824                           // 000000023744: D86C5540 4D000007
	ds_read_b32 v78, v7 offset:21888                           // 00000002374C: D86C5580 4E000007
	ds_read_b32 v79, v7 offset:21952                           // 000000023754: D86C55C0 4F000007
	v_mul_f32_e32 v39, v50, v39                                // 00000002375C: 0A4E4F32
	v_mov_b32_e32 v15, v128                                    // 000000023760: 7E1E0380
	v_add_f32_e32 v15, v129, v15                               // 000000023764: 021E1F81
	v_add_f32_e32 v15, v130, v15                               // 000000023768: 021E1F82
	v_add_f32_e32 v15, v131, v15                               // 00000002376C: 021E1F83
	v_add_f32_e32 v15, v132, v15                               // 000000023770: 021E1F84
	v_add_f32_e32 v15, v133, v15                               // 000000023774: 021E1F85
	v_add_f32_e32 v15, v134, v15                               // 000000023778: 021E1F86
	v_add_f32_e32 v15, v135, v15                               // 00000002377C: 021E1F87
	v_add_f32_e32 v15, v136, v15                               // 000000023780: 021E1F88
	v_add_f32_e32 v15, v137, v15                               // 000000023784: 021E1F89
	v_add_f32_e32 v15, v138, v15                               // 000000023788: 021E1F8A
	v_add_f32_e32 v15, v139, v15                               // 00000002378C: 021E1F8B
	v_add_f32_e32 v15, v140, v15                               // 000000023790: 021E1F8C
	v_add_f32_e32 v15, v141, v15                               // 000000023794: 021E1F8D
	v_add_f32_e32 v15, v142, v15                               // 000000023798: 021E1F8E
	v_add_f32_e32 v15, v143, v15                               // 00000002379C: 021E1F8F
	v_add_f32_e32 v39, v15, v39                                // 0000000237A0: 024E4F0F
	s_waitcnt lgkmcnt(0)                                       // 0000000237A4: BF8CC07F
	v_max3_f32 v48, |v64|, |v65|, v48                          // 0000000237A8: D1D30330 04C28340
	v_max3_f32 v48, |v66|, |v67|, v48                          // 0000000237B0: D1D30330 04C28742
	v_max3_f32 v48, |v68|, |v69|, v48                          // 0000000237B8: D1D30330 04C28B44
	v_max3_f32 v48, |v70|, |v71|, v48                          // 0000000237C0: D1D30330 04C28F46
	v_max3_f32 v48, |v72|, |v73|, v48                          // 0000000237C8: D1D30330 04C29348
	v_max3_f32 v48, |v74|, |v75|, v48                          // 0000000237D0: D1D30330 04C2974A
	v_max3_f32 v48, |v76|, |v77|, v48                          // 0000000237D8: D1D30330 04C29B4C
	v_max3_f32 v48, |v78|, |v79|, v48                          // 0000000237E0: D1D30330 04C29F4E
	s_nop 2                                                    // 0000000237E8: BF800002
	v_rcp_f32_e32 v48, v48                                     // 0000000237EC: 7E604530
	s_nop 1                                                    // 0000000237F0: BF800001
	v_mul_f32_e32 v48, 0x42fe0000, v48                         // 0000000237F4: 0A6060FF 42FE0000
	v_mul_f32_e32 v128, v48, v240                              // 0000000237FC: 0B01E130
	v_mul_f32_e32 v129, v48, v241                              // 000000023800: 0B03E330
	v_mul_f32_e32 v130, v48, v242                              // 000000023804: 0B05E530
	v_mul_f32_e32 v131, v48, v243                              // 000000023808: 0B07E730
	v_mul_f32_e32 v132, v48, v244                              // 00000002380C: 0B09E930
	v_mul_f32_e32 v133, v48, v245                              // 000000023810: 0B0BEB30
	v_mul_f32_e32 v134, v48, v246                              // 000000023814: 0B0DED30
	v_mul_f32_e32 v135, v48, v247                              // 000000023818: 0B0FEF30
	v_mul_f32_e32 v136, v48, v248                              // 00000002381C: 0B11F130
	v_mul_f32_e32 v137, v48, v249                              // 000000023820: 0B13F330
	v_mul_f32_e32 v138, v48, v250                              // 000000023824: 0B15F530
	v_mul_f32_e32 v139, v48, v251                              // 000000023828: 0B17F730
	v_mul_f32_e32 v140, v48, v252                              // 00000002382C: 0B19F930
	v_mul_f32_e32 v141, v48, v253                              // 000000023830: 0B1BFB30
	v_mul_f32_e32 v142, v48, v254                              // 000000023834: 0B1DFD30
	v_mul_f32_e32 v143, v48, v255                              // 000000023838: 0B1FFF30
	v_cvt_i32_f32_e32 v128, v128                               // 00000002383C: 7F001180
	v_cvt_i32_f32_e32 v129, v129                               // 000000023840: 7F021181
	v_cvt_i32_f32_e32 v130, v130                               // 000000023844: 7F041182
	v_cvt_i32_f32_e32 v131, v131                               // 000000023848: 7F061183
	v_cvt_i32_f32_e32 v132, v132                               // 00000002384C: 7F081184
	v_cvt_i32_f32_e32 v133, v133                               // 000000023850: 7F0A1185
	v_cvt_i32_f32_e32 v134, v134                               // 000000023854: 7F0C1186
	v_cvt_i32_f32_e32 v135, v135                               // 000000023858: 7F0E1187
	v_cvt_i32_f32_e32 v136, v136                               // 00000002385C: 7F101188
	v_cvt_i32_f32_e32 v137, v137                               // 000000023860: 7F121189
	v_cvt_i32_f32_e32 v138, v138                               // 000000023864: 7F14118A
	v_cvt_i32_f32_e32 v139, v139                               // 000000023868: 7F16118B
	v_cvt_i32_f32_e32 v140, v140                               // 00000002386C: 7F18118C
	v_cvt_i32_f32_e32 v141, v141                               // 000000023870: 7F1A118D
	v_cvt_i32_f32_e32 v142, v142                               // 000000023874: 7F1C118E
	v_cvt_i32_f32_e32 v143, v143                               // 000000023878: 7F1E118F
	v_perm_b32 v128, v129, v128, s53                           // 00000002387C: D1ED0080 00D70181
	v_perm_b32 v128, v130, v128, s54                           // 000000023884: D1ED0080 00DB0182
	v_perm_b32 v128, v131, v128, s55                           // 00000002388C: D1ED0080 00DF0183
	v_perm_b32 v129, v133, v132, s53                           // 000000023894: D1ED0081 00D70985
	v_perm_b32 v129, v134, v129, s54                           // 00000002389C: D1ED0081 00DB0386
	v_perm_b32 v129, v135, v129, s55                           // 0000000238A4: D1ED0081 00DF0387
	v_perm_b32 v130, v137, v136, s53                           // 0000000238AC: D1ED0082 00D71189
	v_perm_b32 v130, v138, v130, s54                           // 0000000238B4: D1ED0082 00DB058A
	v_perm_b32 v130, v139, v130, s55                           // 0000000238BC: D1ED0082 00DF058B
	v_perm_b32 v131, v141, v140, s53                           // 0000000238C4: D1ED0083 00D7198D
	v_perm_b32 v131, v142, v131, s54                           // 0000000238CC: D1ED0083 00DB078E
	v_perm_b32 v131, v143, v131, s55                           // 0000000238D4: D1ED0083 00DF078F
	ds_write_b32 v10, v128 offset:29184                        // 0000000238DC: D81A7200 0000800A
	ds_write_b32 v10, v129 offset:30208                        // 0000000238E4: D81A7600 0000810A
	ds_write_b32 v10, v130 offset:31232                        // 0000000238EC: D81A7A00 0000820A
	ds_write_b32 v10, v131 offset:32256                        // 0000000238F4: D81A7E00 0000830A
	v_add_f32_e32 v216, v216, v184                             // 0000000238FC: 03B171D8
	v_add_f32_e32 v217, v217, v185                             // 000000023900: 03B373D9
	v_add_f32_e32 v218, v218, v186                             // 000000023904: 03B575DA
	v_add_f32_e32 v219, v219, v187                             // 000000023908: 03B777DB
	v_add_f32_e32 v220, v220, v188                             // 00000002390C: 03B979DC
	v_add_f32_e32 v221, v221, v189                             // 000000023910: 03BB7BDD
	v_add_f32_e32 v222, v222, v190                             // 000000023914: 03BD7DDE
	v_add_f32_e32 v223, v223, v191                             // 000000023918: 03BF7FDF
	v_rcp_f32_e32 v45, v48                                     // 00000002391C: 7E5A4530
	s_waitcnt lgkmcnt(0)                                       // 000000023920: BF8CC07F
	s_barrier                                                  // 000000023924: BF8A0000
	ds_read_b64 v[128:129], v9 offset:29184                    // 000000023928: D8EC7200 80000009
	ds_read_b64 v[130:131], v9 offset:29312                    // 000000023930: D8EC7280 82000009
	ds_read_b64 v[132:133], v9 offset:30208                    // 000000023938: D8EC7600 84000009
	ds_read_b64 v[134:135], v9 offset:30336                    // 000000023940: D8EC7680 86000009
	ds_read_b64 v[136:137], v9 offset:31232                    // 000000023948: D8EC7A00 88000009
	ds_read_b64 v[138:139], v9 offset:31360                    // 000000023950: D8EC7A80 8A000009
	ds_read_b64 v[140:141], v9 offset:32256                    // 000000023958: D8EC7E00 8C000009
	ds_read_b64 v[142:143], v9 offset:32384                    // 000000023960: D8EC7E80 8E000009
	v_mov_b32_dpp v64, v43 row_shr:4 row_mask:0xf bank_mask:0xf// 000000023968: 7E8002FA FF01142B
	v_mov_b32_dpp v65, v43 row_shl:4 row_mask:0xf bank_mask:0xf// 000000023970: 7E8202FA FF01042B
	v_cndmask_b32_e64 v248, v43, v64, s[44:45]                 // 000000023978: D10000F8 00B2812B
	v_cndmask_b32_e64 v249, v65, v43, s[44:45]                 // 000000023980: D10000F9 00B25741
	v_mov_b32_dpp v64, v248 row_shr:8 row_mask:0xf bank_mask:0xf// 000000023988: 7E8002FA FF0118F8
	v_mov_b32_dpp v65, v248 row_shl:8 row_mask:0xf bank_mask:0xf// 000000023990: 7E8202FA FF0108F8
	v_mov_b32_dpp v66, v249 row_shr:8 row_mask:0xf bank_mask:0xf// 000000023998: 7E8402FA FF0118F9
	v_mov_b32_dpp v67, v249 row_shl:8 row_mask:0xf bank_mask:0xf// 0000000239A0: 7E8602FA FF0108F9
	v_mov_b32_e32 v68, v248                                    // 0000000239A8: 7E8803F8
	v_mov_b32_e32 v69, v249                                    // 0000000239AC: 7E8A03F9
	v_cndmask_b32_e64 v248, v68, v64, s[42:43]                 // 0000000239B0: D10000F8 00AA8144
	v_cndmask_b32_e64 v250, v68, v65, s[78:79]                 // 0000000239B8: D10000FA 013A8344
	v_cndmask_b32_e64 v249, v69, v66, s[42:43]                 // 0000000239C0: D10000F9 00AA8545
	v_cndmask_b32_e64 v251, v69, v67, s[78:79]                 // 0000000239C8: D10000FB 013A8745
	v_mov_b32_dpp v64, v58 row_shr:4 row_mask:0xf bank_mask:0xf// 0000000239D0: 7E8002FA FF01143A
	v_mov_b32_dpp v65, v58 row_shl:4 row_mask:0xf bank_mask:0xf// 0000000239D8: 7E8202FA FF01043A
	v_cndmask_b32_e64 v252, v58, v64, s[44:45]                 // 0000000239E0: D10000FC 00B2813A
	v_cndmask_b32_e64 v253, v65, v58, s[44:45]                 // 0000000239E8: D10000FD 00B27541
	v_mov_b32_dpp v64, v252 row_shr:8 row_mask:0xf bank_mask:0xf// 0000000239F0: 7E8002FA FF0118FC
	v_mov_b32_dpp v65, v252 row_shl:8 row_mask:0xf bank_mask:0xf// 0000000239F8: 7E8202FA FF0108FC
	v_mov_b32_dpp v66, v253 row_shr:8 row_mask:0xf bank_mask:0xf// 000000023A00: 7E8402FA FF0118FD
	v_mov_b32_dpp v67, v253 row_shl:8 row_mask:0xf bank_mask:0xf// 000000023A08: 7E8602FA FF0108FD
	v_mov_b32_e32 v68, v252                                    // 000000023A10: 7E8803FC
	v_mov_b32_e32 v69, v253                                    // 000000023A14: 7E8A03FD
	v_cndmask_b32_e64 v252, v68, v64, s[42:43]                 // 000000023A18: D10000FC 00AA8144
	v_cndmask_b32_e64 v254, v68, v65, s[78:79]                 // 000000023A20: D10000FE 013A8344
	v_cndmask_b32_e64 v253, v69, v66, s[42:43]                 // 000000023A28: D10000FD 00AA8545
	v_cndmask_b32_e64 v255, v69, v67, s[78:79]                 // 000000023A30: D10000FF 013A8745
	v_cvt_f32_i32_e32 v144, v144                               // 000000023A38: 7F200B90
	v_cvt_f32_i32_e32 v145, v145                               // 000000023A3C: 7F220B91
	v_cvt_f32_i32_e32 v146, v146                               // 000000023A40: 7F240B92
	v_cvt_f32_i32_e32 v147, v147                               // 000000023A44: 7F260B93
	v_cvt_f32_i32_e32 v148, v148                               // 000000023A48: 7F280B94
	v_cvt_f32_i32_e32 v149, v149                               // 000000023A4C: 7F2A0B95
	v_cvt_f32_i32_e32 v150, v150                               // 000000023A50: 7F2C0B96
	v_cvt_f32_i32_e32 v151, v151                               // 000000023A54: 7F2E0B97
	v_cvt_f32_i32_e32 v152, v152                               // 000000023A58: 7F300B98
	v_cvt_f32_i32_e32 v153, v153                               // 000000023A5C: 7F320B99
	v_cvt_f32_i32_e32 v154, v154                               // 000000023A60: 7F340B9A
	v_cvt_f32_i32_e32 v155, v155                               // 000000023A64: 7F360B9B
	v_cvt_f32_i32_e32 v156, v156                               // 000000023A68: 7F380B9C
	v_cvt_f32_i32_e32 v157, v157                               // 000000023A6C: 7F3A0B9D
	v_cvt_f32_i32_e32 v158, v158                               // 000000023A70: 7F3C0B9E
	v_cvt_f32_i32_e32 v159, v159                               // 000000023A74: 7F3E0B9F
	v_mul_f32_e32 v144, v20, v144                              // 000000023A78: 0B212114
	v_mul_f32_e32 v145, v20, v145                              // 000000023A7C: 0B232314
	v_mul_f32_e32 v146, v20, v146                              // 000000023A80: 0B252514
	v_mul_f32_e32 v147, v20, v147                              // 000000023A84: 0B272714
	v_mul_f32_e32 v148, v20, v148                              // 000000023A88: 0B292914
	v_mul_f32_e32 v149, v20, v149                              // 000000023A8C: 0B2B2B14
	v_mul_f32_e32 v150, v20, v150                              // 000000023A90: 0B2D2D14
	v_mul_f32_e32 v151, v20, v151                              // 000000023A94: 0B2F2F14
	v_mul_f32_e32 v152, v20, v152                              // 000000023A98: 0B313114
	v_mul_f32_e32 v153, v20, v153                              // 000000023A9C: 0B333314
	v_mul_f32_e32 v154, v20, v154                              // 000000023AA0: 0B353514
	v_mul_f32_e32 v155, v20, v155                              // 000000023AA4: 0B373714
	v_mul_f32_e32 v156, v20, v156                              // 000000023AA8: 0B393914
	v_mul_f32_e32 v157, v20, v157                              // 000000023AAC: 0B3B3B14
	v_mul_f32_e32 v158, v20, v158                              // 000000023AB0: 0B3D3D14
	v_mul_f32_e32 v159, v20, v159                              // 000000023AB4: 0B3F3F14
	v_mul_f32_dpp v144, v248, v144 quad_perm:[0,0,0,0] row_mask:0xf bank_mask:0xf// 000000023AB8: 0B2120FA FF0000F8
	v_mul_f32_dpp v145, v248, v145 quad_perm:[1,1,1,1] row_mask:0xf bank_mask:0xf// 000000023AC0: 0B2322FA FF0055F8
	v_mul_f32_dpp v146, v248, v146 quad_perm:[2,2,2,2] row_mask:0xf bank_mask:0xf// 000000023AC8: 0B2524FA FF00AAF8
	v_mul_f32_dpp v147, v248, v147 quad_perm:[3,3,3,3] row_mask:0xf bank_mask:0xf// 000000023AD0: 0B2726FA FF00FFF8
	v_mul_f32_dpp v148, v249, v148 quad_perm:[0,0,0,0] row_mask:0xf bank_mask:0xf// 000000023AD8: 0B2928FA FF0000F9
	v_mul_f32_dpp v149, v249, v149 quad_perm:[1,1,1,1] row_mask:0xf bank_mask:0xf// 000000023AE0: 0B2B2AFA FF0055F9
	v_mul_f32_dpp v150, v249, v150 quad_perm:[2,2,2,2] row_mask:0xf bank_mask:0xf// 000000023AE8: 0B2D2CFA FF00AAF9
	v_mul_f32_dpp v151, v249, v151 quad_perm:[3,3,3,3] row_mask:0xf bank_mask:0xf// 000000023AF0: 0B2F2EFA FF00FFF9
	v_mul_f32_dpp v152, v250, v152 quad_perm:[0,0,0,0] row_mask:0xf bank_mask:0xf// 000000023AF8: 0B3130FA FF0000FA
	v_mul_f32_dpp v153, v250, v153 quad_perm:[1,1,1,1] row_mask:0xf bank_mask:0xf// 000000023B00: 0B3332FA FF0055FA
	v_mul_f32_dpp v154, v250, v154 quad_perm:[2,2,2,2] row_mask:0xf bank_mask:0xf// 000000023B08: 0B3534FA FF00AAFA
	v_mul_f32_dpp v155, v250, v155 quad_perm:[3,3,3,3] row_mask:0xf bank_mask:0xf// 000000023B10: 0B3736FA FF00FFFA
	v_mul_f32_dpp v156, v251, v156 quad_perm:[0,0,0,0] row_mask:0xf bank_mask:0xf// 000000023B18: 0B3938FA FF0000FB
	v_mul_f32_dpp v157, v251, v157 quad_perm:[1,1,1,1] row_mask:0xf bank_mask:0xf// 000000023B20: 0B3B3AFA FF0055FB
	v_mul_f32_dpp v158, v251, v158 quad_perm:[2,2,2,2] row_mask:0xf bank_mask:0xf// 000000023B28: 0B3D3CFA FF00AAFB
	v_mul_f32_dpp v159, v251, v159 quad_perm:[3,3,3,3] row_mask:0xf bank_mask:0xf// 000000023B30: 0B3F3EFA FF00FFFB
	v_mov_b32_e32 v48, v144                                    // 000000023B38: 7E600390
	v_max3_f32 v48, v144, v145, v48                            // 000000023B3C: D1D30030 04C32390
	v_max3_f32 v48, v146, v147, v48                            // 000000023B44: D1D30030 04C32792
	v_max3_f32 v48, v148, v149, v48                            // 000000023B4C: D1D30030 04C32B94
	v_max3_f32 v48, v150, v151, v48                            // 000000023B54: D1D30030 04C32F96
	v_max3_f32 v48, v152, v153, v48                            // 000000023B5C: D1D30030 04C33398
	v_max3_f32 v48, v154, v155, v48                            // 000000023B64: D1D30030 04C3379A
	v_max3_f32 v48, v156, v157, v48                            // 000000023B6C: D1D30030 04C33B9C
	v_max3_f32 v48, v158, v159, v48                            // 000000023B74: D1D30030 04C33F9E
	ds_write_b32 v8, v48 offset:16896                          // 000000023B7C: D81A4200 00003008
	v_mul_f32_e32 v224, v51, v224                              // 000000023B84: 0BC1C133
	v_mul_f32_e32 v225, v51, v225                              // 000000023B88: 0BC3C333
	v_mul_f32_e32 v226, v51, v226                              // 000000023B8C: 0BC5C533
	v_mul_f32_e32 v227, v51, v227                              // 000000023B90: 0BC7C733
	v_mul_f32_e32 v228, v51, v228                              // 000000023B94: 0BC9C933
	v_mul_f32_e32 v229, v51, v229                              // 000000023B98: 0BCBCB33
	v_mul_f32_e32 v230, v51, v230                              // 000000023B9C: 0BCDCD33
	v_mul_f32_e32 v231, v51, v231                              // 000000023BA0: 0BCFCF33
	s_waitcnt lgkmcnt(0)                                       // 000000023BA4: BF8CC07F
	s_barrier                                                  // 000000023BA8: BF8A0000
	ds_read_b32 v64, v7 offset:16896                           // 000000023BAC: D86C4200 40000007
	ds_read_b32 v65, v7 offset:16960                           // 000000023BB4: D86C4240 41000007
	ds_read_b32 v66, v7 offset:17024                           // 000000023BBC: D86C4280 42000007
	ds_read_b32 v67, v7 offset:17088                           // 000000023BC4: D86C42C0 43000007
	ds_read_b32 v68, v7 offset:17152                           // 000000023BCC: D86C4300 44000007
	ds_read_b32 v69, v7 offset:17216                           // 000000023BD4: D86C4340 45000007
	ds_read_b32 v70, v7 offset:17280                           // 000000023BDC: D86C4380 46000007
	ds_read_b32 v71, v7 offset:17344                           // 000000023BE4: D86C43C0 47000007
	ds_read_b32 v72, v7 offset:17408                           // 000000023BEC: D86C4400 48000007
	ds_read_b32 v73, v7 offset:17472                           // 000000023BF4: D86C4440 49000007
	ds_read_b32 v74, v7 offset:17536                           // 000000023BFC: D86C4480 4A000007
	ds_read_b32 v75, v7 offset:17600                           // 000000023C04: D86C44C0 4B000007
	ds_read_b32 v76, v7 offset:17664                           // 000000023C0C: D86C4500 4C000007
	ds_read_b32 v77, v7 offset:17728                           // 000000023C14: D86C4540 4D000007
	ds_read_b32 v78, v7 offset:17792                           // 000000023C1C: D86C4580 4E000007
	ds_read_b32 v79, v7 offset:17856                           // 000000023C24: D86C45C0 4F000007
	v_cvt_f32_i32_e32 v192, v192                               // 000000023C2C: 7F800BC0
	v_cvt_f32_i32_e32 v193, v193                               // 000000023C30: 7F820BC1
	v_cvt_f32_i32_e32 v194, v194                               // 000000023C34: 7F840BC2
	v_cvt_f32_i32_e32 v195, v195                               // 000000023C38: 7F860BC3
	v_cvt_f32_i32_e32 v196, v196                               // 000000023C3C: 7F880BC4
	v_cvt_f32_i32_e32 v197, v197                               // 000000023C40: 7F8A0BC5
	v_cvt_f32_i32_e32 v198, v198                               // 000000023C44: 7F8C0BC6
	v_cvt_f32_i32_e32 v199, v199                               // 000000023C48: 7F8E0BC7
	v_mul_f32_e32 v192, v46, v192                              // 000000023C4C: 0B81812E
	v_mul_f32_e32 v193, v46, v193                              // 000000023C50: 0B83832E
	v_mul_f32_e32 v194, v46, v194                              // 000000023C54: 0B85852E
	v_mul_f32_e32 v195, v46, v195                              // 000000023C58: 0B87872E
	v_mul_f32_e32 v196, v46, v196                              // 000000023C5C: 0B89892E
	v_mul_f32_e32 v197, v46, v197                              // 000000023C60: 0B8B8B2E
	v_mul_f32_e32 v198, v46, v198                              // 000000023C64: 0B8D8D2E
	v_mul_f32_e32 v199, v46, v199                              // 000000023C68: 0B8F8F2E
	s_waitcnt lgkmcnt(0)                                       // 000000023C6C: BF8CC07F
	v_max3_f32 v48, v64, v65, v48                              // 000000023C70: D1D30030 04C28340
	v_max3_f32 v48, v66, v67, v48                              // 000000023C78: D1D30030 04C28742
	v_max3_f32 v48, v68, v69, v48                              // 000000023C80: D1D30030 04C28B44
	v_max3_f32 v48, v70, v71, v48                              // 000000023C88: D1D30030 04C28F46
	v_max3_f32 v48, v72, v73, v48                              // 000000023C90: D1D30030 04C29348
	v_max3_f32 v48, v74, v75, v48                              // 000000023C98: D1D30030 04C2974A
	v_max3_f32 v48, v76, v77, v48                              // 000000023CA0: D1D30030 04C29B4C
	v_max3_f32 v48, v78, v79, v48                              // 000000023CA8: D1D30030 04C29F4E
	v_mov_b32_e32 v64, 0xff800000                              // 000000023CB0: 7E8002FF FF800000
	v_cmp_eq_u32_e64 s[40:41], v64, v13                        // 000000023CB8: D0CA0028 00021B40
	s_nop 1                                                    // 000000023CC0: BF800001
	v_max_f32_e32 v15, v48, v13                                // 000000023CC4: 161E1B30
	v_mul_f32_e32 v53, s64, v15                                // 000000023CC8: 0A6A1E40
	v_fma_f32 v144, v144, s64, -v53                            // 000000023CCC: D1CB0090 84D48190
	v_fma_f32 v145, v145, s64, -v53                            // 000000023CD4: D1CB0091 84D48191
	v_fma_f32 v146, v146, s64, -v53                            // 000000023CDC: D1CB0092 84D48192
	v_fma_f32 v147, v147, s64, -v53                            // 000000023CE4: D1CB0093 84D48193
	v_fma_f32 v148, v148, s64, -v53                            // 000000023CEC: D1CB0094 84D48194
	v_fma_f32 v149, v149, s64, -v53                            // 000000023CF4: D1CB0095 84D48195
	v_fma_f32 v150, v150, s64, -v53                            // 000000023CFC: D1CB0096 84D48196
	v_fma_f32 v151, v151, s64, -v53                            // 000000023D04: D1CB0097 84D48197
	v_fma_f32 v152, v152, s64, -v53                            // 000000023D0C: D1CB0098 84D48198
	v_fma_f32 v153, v153, s64, -v53                            // 000000023D14: D1CB0099 84D48199
	v_fma_f32 v154, v154, s64, -v53                            // 000000023D1C: D1CB009A 84D4819A
	v_fma_f32 v155, v155, s64, -v53                            // 000000023D24: D1CB009B 84D4819B
	v_fma_f32 v156, v156, s64, -v53                            // 000000023D2C: D1CB009C 84D4819C
	v_fma_f32 v157, v157, s64, -v53                            // 000000023D34: D1CB009D 84D4819D
	v_fma_f32 v158, v158, s64, -v53                            // 000000023D3C: D1CB009E 84D4819E
	v_fma_f32 v159, v159, s64, -v53                            // 000000023D44: D1CB009F 84D4819F
	v_exp_f32_e32 v144, v144                                   // 000000023D4C: 7F204190
	v_exp_f32_e32 v145, v145                                   // 000000023D50: 7F224191
	v_exp_f32_e32 v146, v146                                   // 000000023D54: 7F244192
	v_exp_f32_e32 v147, v147                                   // 000000023D58: 7F264193
	v_exp_f32_e32 v148, v148                                   // 000000023D5C: 7F284194
	v_exp_f32_e32 v149, v149                                   // 000000023D60: 7F2A4195
	v_exp_f32_e32 v150, v150                                   // 000000023D64: 7F2C4196
	v_exp_f32_e32 v151, v151                                   // 000000023D68: 7F2E4197
	v_exp_f32_e32 v152, v152                                   // 000000023D6C: 7F304198
	v_exp_f32_e32 v153, v153                                   // 000000023D70: 7F324199
	v_exp_f32_e32 v154, v154                                   // 000000023D74: 7F34419A
	v_exp_f32_e32 v155, v155                                   // 000000023D78: 7F36419B
	v_exp_f32_e32 v156, v156                                   // 000000023D7C: 7F38419C
	v_exp_f32_e32 v157, v157                                   // 000000023D80: 7F3A419D
	v_exp_f32_e32 v158, v158                                   // 000000023D84: 7F3C419E
	v_exp_f32_e32 v159, v159                                   // 000000023D88: 7F3E419F
	v_mul_f32_dpp v240, v252, v144 quad_perm:[0,0,0,0] row_mask:0xf bank_mask:0xf// 000000023D8C: 0BE120FA FF0000FC
	v_mul_f32_dpp v241, v252, v145 quad_perm:[1,1,1,1] row_mask:0xf bank_mask:0xf// 000000023D94: 0BE322FA FF0055FC
	v_mul_f32_dpp v242, v252, v146 quad_perm:[2,2,2,2] row_mask:0xf bank_mask:0xf// 000000023D9C: 0BE524FA FF00AAFC
	v_mul_f32_dpp v243, v252, v147 quad_perm:[3,3,3,3] row_mask:0xf bank_mask:0xf// 000000023DA4: 0BE726FA FF00FFFC
	v_mul_f32_dpp v244, v253, v148 quad_perm:[0,0,0,0] row_mask:0xf bank_mask:0xf// 000000023DAC: 0BE928FA FF0000FD
	v_mul_f32_dpp v245, v253, v149 quad_perm:[1,1,1,1] row_mask:0xf bank_mask:0xf// 000000023DB4: 0BEB2AFA FF0055FD
	v_mul_f32_dpp v246, v253, v150 quad_perm:[2,2,2,2] row_mask:0xf bank_mask:0xf// 000000023DBC: 0BED2CFA FF00AAFD
	v_mul_f32_dpp v247, v253, v151 quad_perm:[3,3,3,3] row_mask:0xf bank_mask:0xf// 000000023DC4: 0BEF2EFA FF00FFFD
	v_mul_f32_dpp v248, v254, v152 quad_perm:[0,0,0,0] row_mask:0xf bank_mask:0xf// 000000023DCC: 0BF130FA FF0000FE
	v_mul_f32_dpp v249, v254, v153 quad_perm:[1,1,1,1] row_mask:0xf bank_mask:0xf// 000000023DD4: 0BF332FA FF0055FE
	v_mul_f32_dpp v250, v254, v154 quad_perm:[2,2,2,2] row_mask:0xf bank_mask:0xf// 000000023DDC: 0BF534FA FF00AAFE
	v_mul_f32_dpp v251, v254, v155 quad_perm:[3,3,3,3] row_mask:0xf bank_mask:0xf// 000000023DE4: 0BF736FA FF00FFFE
	v_mul_f32_dpp v252, v255, v156 quad_perm:[0,0,0,0] row_mask:0xf bank_mask:0xf// 000000023DEC: 0BF938FA FF0000FF
	v_mul_f32_dpp v253, v255, v157 quad_perm:[1,1,1,1] row_mask:0xf bank_mask:0xf// 000000023DF4: 0BFB3AFA FF0055FF
	v_mul_f32_dpp v254, v255, v158 quad_perm:[2,2,2,2] row_mask:0xf bank_mask:0xf// 000000023DFC: 0BFD3CFA FF00AAFF
	v_mul_f32_dpp v255, v255, v159 quad_perm:[3,3,3,3] row_mask:0xf bank_mask:0xf// 000000023E04: 0BFF3EFA FF00FFFF
	v_mov_b32_e32 v48, 0x358637bd                              // 000000023E0C: 7E6002FF 358637BD
	v_max3_f32 v48, |v240|, |v241|, v48                        // 000000023E14: D1D30330 04C3E3F0
	v_max3_f32 v48, |v242|, |v243|, v48                        // 000000023E1C: D1D30330 04C3E7F2
	v_max3_f32 v48, |v244|, |v245|, v48                        // 000000023E24: D1D30330 04C3EBF4
	v_max3_f32 v48, |v246|, |v247|, v48                        // 000000023E2C: D1D30330 04C3EFF6
	v_max3_f32 v48, |v248|, |v249|, v48                        // 000000023E34: D1D30330 04C3F3F8
	v_max3_f32 v48, |v250|, |v251|, v48                        // 000000023E3C: D1D30330 04C3F7FA
	v_max3_f32 v48, |v252|, |v253|, v48                        // 000000023E44: D1D30330 04C3FBFC
	v_max3_f32 v48, |v254|, |v255|, v48                        // 000000023E4C: D1D30330 04C3FFFE
	ds_write_b32 v8, v48 offset:20992                          // 000000023E54: D81A5200 00003008
	v_sub_f32_e32 v51, v13, v15                                // 000000023E5C: 04661F0D
	v_cndmask_b32_e64 v51, v51, 0, s[40:41]                    // 000000023E60: D1000033 00A10133
	v_mov_b32_e32 v13, v15                                     // 000000023E68: 7E1A030F
	v_mul_f32_e32 v51, s64, v51                                // 000000023E6C: 0A666640
	v_exp_f32_e32 v51, v51                                     // 000000023E70: 7E664133
	s_waitcnt lgkmcnt(0)                                       // 000000023E74: BF8CC07F
	s_barrier                                                  // 000000023E78: BF8A0000
	ds_read_b32 v64, v7 offset:20992                           // 000000023E7C: D86C5200 40000007
	ds_read_b32 v65, v7 offset:21056                           // 000000023E84: D86C5240 41000007
	ds_read_b32 v66, v7 offset:21120                           // 000000023E8C: D86C5280 42000007
	ds_read_b32 v67, v7 offset:21184                           // 000000023E94: D86C52C0 43000007
	ds_read_b32 v68, v7 offset:21248                           // 000000023E9C: D86C5300 44000007
	ds_read_b32 v69, v7 offset:21312                           // 000000023EA4: D86C5340 45000007
	ds_read_b32 v70, v7 offset:21376                           // 000000023EAC: D86C5380 46000007
	ds_read_b32 v71, v7 offset:21440                           // 000000023EB4: D86C53C0 47000007
	ds_read_b32 v72, v7 offset:21504                           // 000000023EBC: D86C5400 48000007
	ds_read_b32 v73, v7 offset:21568                           // 000000023EC4: D86C5440 49000007
	ds_read_b32 v74, v7 offset:21632                           // 000000023ECC: D86C5480 4A000007
	ds_read_b32 v75, v7 offset:21696                           // 000000023ED4: D86C54C0 4B000007
	ds_read_b32 v76, v7 offset:21760                           // 000000023EDC: D86C5500 4C000007
	ds_read_b32 v77, v7 offset:21824                           // 000000023EE4: D86C5540 4D000007
	ds_read_b32 v78, v7 offset:21888                           // 000000023EEC: D86C5580 4E000007
	ds_read_b32 v79, v7 offset:21952                           // 000000023EF4: D86C55C0 4F000007
	v_mul_f32_e32 v40, v51, v40                                // 000000023EFC: 0A505133
	v_mov_b32_e32 v15, v144                                    // 000000023F00: 7E1E0390
	v_add_f32_e32 v15, v145, v15                               // 000000023F04: 021E1F91
	v_add_f32_e32 v15, v146, v15                               // 000000023F08: 021E1F92
	v_add_f32_e32 v15, v147, v15                               // 000000023F0C: 021E1F93
	v_add_f32_e32 v15, v148, v15                               // 000000023F10: 021E1F94
	v_add_f32_e32 v15, v149, v15                               // 000000023F14: 021E1F95
	v_add_f32_e32 v15, v150, v15                               // 000000023F18: 021E1F96
	v_add_f32_e32 v15, v151, v15                               // 000000023F1C: 021E1F97
	v_add_f32_e32 v15, v152, v15                               // 000000023F20: 021E1F98
	v_add_f32_e32 v15, v153, v15                               // 000000023F24: 021E1F99
	v_add_f32_e32 v15, v154, v15                               // 000000023F28: 021E1F9A
	v_add_f32_e32 v15, v155, v15                               // 000000023F2C: 021E1F9B
	v_add_f32_e32 v15, v156, v15                               // 000000023F30: 021E1F9C
	v_add_f32_e32 v15, v157, v15                               // 000000023F34: 021E1F9D
	v_add_f32_e32 v15, v158, v15                               // 000000023F38: 021E1F9E
	v_add_f32_e32 v15, v159, v15                               // 000000023F3C: 021E1F9F
	v_add_f32_e32 v40, v15, v40                                // 000000023F40: 0250510F
	s_waitcnt lgkmcnt(0)                                       // 000000023F44: BF8CC07F
	v_max3_f32 v48, |v64|, |v65|, v48                          // 000000023F48: D1D30330 04C28340
	v_max3_f32 v48, |v66|, |v67|, v48                          // 000000023F50: D1D30330 04C28742
	v_max3_f32 v48, |v68|, |v69|, v48                          // 000000023F58: D1D30330 04C28B44
	v_max3_f32 v48, |v70|, |v71|, v48                          // 000000023F60: D1D30330 04C28F46
	v_max3_f32 v48, |v72|, |v73|, v48                          // 000000023F68: D1D30330 04C29348
	v_max3_f32 v48, |v74|, |v75|, v48                          // 000000023F70: D1D30330 04C2974A
	v_max3_f32 v48, |v76|, |v77|, v48                          // 000000023F78: D1D30330 04C29B4C
	v_max3_f32 v48, |v78|, |v79|, v48                          // 000000023F80: D1D30330 04C29F4E
	s_nop 2                                                    // 000000023F88: BF800002
	v_rcp_f32_e32 v48, v48                                     // 000000023F8C: 7E604530
	s_nop 1                                                    // 000000023F90: BF800001
	v_mul_f32_e32 v48, 0x42fe0000, v48                         // 000000023F94: 0A6060FF 42FE0000
	v_mul_f32_e32 v144, v48, v240                              // 000000023F9C: 0B21E130
	v_mul_f32_e32 v145, v48, v241                              // 000000023FA0: 0B23E330
	v_mul_f32_e32 v146, v48, v242                              // 000000023FA4: 0B25E530
	v_mul_f32_e32 v147, v48, v243                              // 000000023FA8: 0B27E730
	v_mul_f32_e32 v148, v48, v244                              // 000000023FAC: 0B29E930
	v_mul_f32_e32 v149, v48, v245                              // 000000023FB0: 0B2BEB30
	v_mul_f32_e32 v150, v48, v246                              // 000000023FB4: 0B2DED30
	v_mul_f32_e32 v151, v48, v247                              // 000000023FB8: 0B2FEF30
	v_mul_f32_e32 v152, v48, v248                              // 000000023FBC: 0B31F130
	v_mul_f32_e32 v153, v48, v249                              // 000000023FC0: 0B33F330
	v_mul_f32_e32 v154, v48, v250                              // 000000023FC4: 0B35F530
	v_mul_f32_e32 v155, v48, v251                              // 000000023FC8: 0B37F730
	v_mul_f32_e32 v156, v48, v252                              // 000000023FCC: 0B39F930
	v_mul_f32_e32 v157, v48, v253                              // 000000023FD0: 0B3BFB30
	v_mul_f32_e32 v158, v48, v254                              // 000000023FD4: 0B3DFD30
	v_mul_f32_e32 v159, v48, v255                              // 000000023FD8: 0B3FFF30
	v_cvt_i32_f32_e32 v144, v144                               // 000000023FDC: 7F201190
	v_cvt_i32_f32_e32 v145, v145                               // 000000023FE0: 7F221191
	v_cvt_i32_f32_e32 v146, v146                               // 000000023FE4: 7F241192
	v_cvt_i32_f32_e32 v147, v147                               // 000000023FE8: 7F261193
	v_cvt_i32_f32_e32 v148, v148                               // 000000023FEC: 7F281194
	v_cvt_i32_f32_e32 v149, v149                               // 000000023FF0: 7F2A1195
	v_cvt_i32_f32_e32 v150, v150                               // 000000023FF4: 7F2C1196
	v_cvt_i32_f32_e32 v151, v151                               // 000000023FF8: 7F2E1197
	v_cvt_i32_f32_e32 v152, v152                               // 000000023FFC: 7F301198
	v_cvt_i32_f32_e32 v153, v153                               // 000000024000: 7F321199
	v_cvt_i32_f32_e32 v154, v154                               // 000000024004: 7F34119A
	v_cvt_i32_f32_e32 v155, v155                               // 000000024008: 7F36119B
	v_cvt_i32_f32_e32 v156, v156                               // 00000002400C: 7F38119C
	v_cvt_i32_f32_e32 v157, v157                               // 000000024010: 7F3A119D
	v_cvt_i32_f32_e32 v158, v158                               // 000000024014: 7F3C119E
	v_cvt_i32_f32_e32 v159, v159                               // 000000024018: 7F3E119F
	v_perm_b32 v144, v145, v144, s53                           // 00000002401C: D1ED0090 00D72191
	v_perm_b32 v144, v146, v144, s54                           // 000000024024: D1ED0090 00DB2192
	v_perm_b32 v144, v147, v144, s55                           // 00000002402C: D1ED0090 00DF2193
	v_perm_b32 v145, v149, v148, s53                           // 000000024034: D1ED0091 00D72995
	v_perm_b32 v145, v150, v145, s54                           // 00000002403C: D1ED0091 00DB2396
	v_perm_b32 v145, v151, v145, s55                           // 000000024044: D1ED0091 00DF2397
	v_perm_b32 v146, v153, v152, s53                           // 00000002404C: D1ED0092 00D73199
	v_perm_b32 v146, v154, v146, s54                           // 000000024054: D1ED0092 00DB259A
	v_perm_b32 v146, v155, v146, s55                           // 00000002405C: D1ED0092 00DF259B
	v_perm_b32 v147, v157, v156, s53                           // 000000024064: D1ED0093 00D7399D
	v_perm_b32 v147, v158, v147, s54                           // 00000002406C: D1ED0093 00DB279E
	v_perm_b32 v147, v159, v147, s55                           // 000000024074: D1ED0093 00DF279F
	ds_write_b32 v10, v144 offset:33280                        // 00000002407C: D81A8200 0000900A
	ds_write_b32 v10, v145 offset:34304                        // 000000024084: D81A8600 0000910A
	ds_write_b32 v10, v146 offset:35328                        // 00000002408C: D81A8A00 0000920A
	ds_write_b32 v10, v147 offset:36352                        // 000000024094: D81A8E00 0000930A
	v_add_f32_e32 v224, v224, v192                             // 00000002409C: 03C181E0
	v_add_f32_e32 v225, v225, v193                             // 0000000240A0: 03C383E1
	v_add_f32_e32 v226, v226, v194                             // 0000000240A4: 03C585E2
	v_add_f32_e32 v227, v227, v195                             // 0000000240A8: 03C787E3
	v_add_f32_e32 v228, v228, v196                             // 0000000240AC: 03C989E4
	v_add_f32_e32 v229, v229, v197                             // 0000000240B0: 03CB8BE5
	v_add_f32_e32 v230, v230, v198                             // 0000000240B4: 03CD8DE6
	v_add_f32_e32 v231, v231, v199                             // 0000000240B8: 03CF8FE7
	v_rcp_f32_e32 v46, v48                                     // 0000000240BC: 7E5C4530
	s_waitcnt lgkmcnt(0)                                       // 0000000240C0: BF8CC07F
	s_barrier                                                  // 0000000240C4: BF8A0000
	ds_read_b64 v[144:145], v9 offset:33280                    // 0000000240C8: D8EC8200 90000009
	ds_read_b64 v[146:147], v9 offset:33408                    // 0000000240D0: D8EC8280 92000009
	ds_read_b64 v[148:149], v9 offset:34304                    // 0000000240D8: D8EC8600 94000009
	ds_read_b64 v[150:151], v9 offset:34432                    // 0000000240E0: D8EC8680 96000009
	ds_read_b64 v[152:153], v9 offset:35328                    // 0000000240E8: D8EC8A00 98000009
	ds_read_b64 v[154:155], v9 offset:35456                    // 0000000240F0: D8EC8A80 9A000009
	ds_read_b64 v[156:157], v9 offset:36352                    // 0000000240F8: D8EC8E00 9C000009
	ds_read_b64 v[158:159], v9 offset:36480                    // 000000024100: D8EC8E80 9E000009
	v_mov_b32_dpp v64, v43 row_shr:4 row_mask:0xf bank_mask:0xf// 000000024108: 7E8002FA FF01142B
	v_mov_b32_dpp v65, v43 row_shl:4 row_mask:0xf bank_mask:0xf// 000000024110: 7E8202FA FF01042B
	v_cndmask_b32_e64 v248, v43, v64, s[44:45]                 // 000000024118: D10000F8 00B2812B
	v_cndmask_b32_e64 v249, v65, v43, s[44:45]                 // 000000024120: D10000F9 00B25741
	v_mov_b32_dpp v64, v248 row_shr:8 row_mask:0xf bank_mask:0xf// 000000024128: 7E8002FA FF0118F8
	v_mov_b32_dpp v65, v248 row_shl:8 row_mask:0xf bank_mask:0xf// 000000024130: 7E8202FA FF0108F8
	v_mov_b32_dpp v66, v249 row_shr:8 row_mask:0xf bank_mask:0xf// 000000024138: 7E8402FA FF0118F9
	v_mov_b32_dpp v67, v249 row_shl:8 row_mask:0xf bank_mask:0xf// 000000024140: 7E8602FA FF0108F9
	v_mov_b32_e32 v68, v248                                    // 000000024148: 7E8803F8
	v_mov_b32_e32 v69, v249                                    // 00000002414C: 7E8A03F9
	v_cndmask_b32_e64 v248, v68, v64, s[42:43]                 // 000000024150: D10000F8 00AA8144
	v_cndmask_b32_e64 v250, v68, v65, s[78:79]                 // 000000024158: D10000FA 013A8344
	v_cndmask_b32_e64 v249, v69, v66, s[42:43]                 // 000000024160: D10000F9 00AA8545
	v_cndmask_b32_e64 v251, v69, v67, s[78:79]                 // 000000024168: D10000FB 013A8745
	v_mov_b32_dpp v64, v58 row_shr:4 row_mask:0xf bank_mask:0xf// 000000024170: 7E8002FA FF01143A
	v_mov_b32_dpp v65, v58 row_shl:4 row_mask:0xf bank_mask:0xf// 000000024178: 7E8202FA FF01043A
	v_cndmask_b32_e64 v252, v58, v64, s[44:45]                 // 000000024180: D10000FC 00B2813A
	v_cndmask_b32_e64 v253, v65, v58, s[44:45]                 // 000000024188: D10000FD 00B27541
	v_mov_b32_dpp v64, v252 row_shr:8 row_mask:0xf bank_mask:0xf// 000000024190: 7E8002FA FF0118FC
	v_mov_b32_dpp v65, v252 row_shl:8 row_mask:0xf bank_mask:0xf// 000000024198: 7E8202FA FF0108FC
	v_mov_b32_dpp v66, v253 row_shr:8 row_mask:0xf bank_mask:0xf// 0000000241A0: 7E8402FA FF0118FD
	v_mov_b32_dpp v67, v253 row_shl:8 row_mask:0xf bank_mask:0xf// 0000000241A8: 7E8602FA FF0108FD
	v_mov_b32_e32 v68, v252                                    // 0000000241B0: 7E8803FC
	v_mov_b32_e32 v69, v253                                    // 0000000241B4: 7E8A03FD
	v_cndmask_b32_e64 v252, v68, v64, s[42:43]                 // 0000000241B8: D10000FC 00AA8144
	v_cndmask_b32_e64 v254, v68, v65, s[78:79]                 // 0000000241C0: D10000FE 013A8344
	v_cndmask_b32_e64 v253, v69, v66, s[42:43]                 // 0000000241C8: D10000FD 00AA8545
	v_cndmask_b32_e64 v255, v69, v67, s[78:79]                 // 0000000241D0: D10000FF 013A8745
	v_cvt_f32_i32_e32 v160, v160                               // 0000000241D8: 7F400BA0
	v_cvt_f32_i32_e32 v161, v161                               // 0000000241DC: 7F420BA1
	v_cvt_f32_i32_e32 v162, v162                               // 0000000241E0: 7F440BA2
	v_cvt_f32_i32_e32 v163, v163                               // 0000000241E4: 7F460BA3
	v_cvt_f32_i32_e32 v164, v164                               // 0000000241E8: 7F480BA4
	v_cvt_f32_i32_e32 v165, v165                               // 0000000241EC: 7F4A0BA5
	v_cvt_f32_i32_e32 v166, v166                               // 0000000241F0: 7F4C0BA6
	v_cvt_f32_i32_e32 v167, v167                               // 0000000241F4: 7F4E0BA7
	v_cvt_f32_i32_e32 v168, v168                               // 0000000241F8: 7F500BA8
	v_cvt_f32_i32_e32 v169, v169                               // 0000000241FC: 7F520BA9
	v_cvt_f32_i32_e32 v170, v170                               // 000000024200: 7F540BAA
	v_cvt_f32_i32_e32 v171, v171                               // 000000024204: 7F560BAB
	v_cvt_f32_i32_e32 v172, v172                               // 000000024208: 7F580BAC
	v_cvt_f32_i32_e32 v173, v173                               // 00000002420C: 7F5A0BAD
	v_cvt_f32_i32_e32 v174, v174                               // 000000024210: 7F5C0BAE
	v_cvt_f32_i32_e32 v175, v175                               // 000000024214: 7F5E0BAF
	v_mul_f32_e32 v160, v21, v160                              // 000000024218: 0B414115
	v_mul_f32_e32 v161, v21, v161                              // 00000002421C: 0B434315
	v_mul_f32_e32 v162, v21, v162                              // 000000024220: 0B454515
	v_mul_f32_e32 v163, v21, v163                              // 000000024224: 0B474715
	v_mul_f32_e32 v164, v21, v164                              // 000000024228: 0B494915
	v_mul_f32_e32 v165, v21, v165                              // 00000002422C: 0B4B4B15
	v_mul_f32_e32 v166, v21, v166                              // 000000024230: 0B4D4D15
	v_mul_f32_e32 v167, v21, v167                              // 000000024234: 0B4F4F15
	v_mul_f32_e32 v168, v21, v168                              // 000000024238: 0B515115
	v_mul_f32_e32 v169, v21, v169                              // 00000002423C: 0B535315
	v_mul_f32_e32 v170, v21, v170                              // 000000024240: 0B555515
	v_mul_f32_e32 v171, v21, v171                              // 000000024244: 0B575715
	v_mul_f32_e32 v172, v21, v172                              // 000000024248: 0B595915
	v_mul_f32_e32 v173, v21, v173                              // 00000002424C: 0B5B5B15
	v_mul_f32_e32 v174, v21, v174                              // 000000024250: 0B5D5D15
	v_mul_f32_e32 v175, v21, v175                              // 000000024254: 0B5F5F15
	v_mul_f32_dpp v160, v248, v160 quad_perm:[0,0,0,0] row_mask:0xf bank_mask:0xf// 000000024258: 0B4140FA FF0000F8
	v_mul_f32_dpp v161, v248, v161 quad_perm:[1,1,1,1] row_mask:0xf bank_mask:0xf// 000000024260: 0B4342FA FF0055F8
	v_mul_f32_dpp v162, v248, v162 quad_perm:[2,2,2,2] row_mask:0xf bank_mask:0xf// 000000024268: 0B4544FA FF00AAF8
	v_mul_f32_dpp v163, v248, v163 quad_perm:[3,3,3,3] row_mask:0xf bank_mask:0xf// 000000024270: 0B4746FA FF00FFF8
	v_mul_f32_dpp v164, v249, v164 quad_perm:[0,0,0,0] row_mask:0xf bank_mask:0xf// 000000024278: 0B4948FA FF0000F9
	v_mul_f32_dpp v165, v249, v165 quad_perm:[1,1,1,1] row_mask:0xf bank_mask:0xf// 000000024280: 0B4B4AFA FF0055F9
	v_mul_f32_dpp v166, v249, v166 quad_perm:[2,2,2,2] row_mask:0xf bank_mask:0xf// 000000024288: 0B4D4CFA FF00AAF9
	v_mul_f32_dpp v167, v249, v167 quad_perm:[3,3,3,3] row_mask:0xf bank_mask:0xf// 000000024290: 0B4F4EFA FF00FFF9
	v_mul_f32_dpp v168, v250, v168 quad_perm:[0,0,0,0] row_mask:0xf bank_mask:0xf// 000000024298: 0B5150FA FF0000FA
	v_mul_f32_dpp v169, v250, v169 quad_perm:[1,1,1,1] row_mask:0xf bank_mask:0xf// 0000000242A0: 0B5352FA FF0055FA
	v_mul_f32_dpp v170, v250, v170 quad_perm:[2,2,2,2] row_mask:0xf bank_mask:0xf// 0000000242A8: 0B5554FA FF00AAFA
	v_mul_f32_dpp v171, v250, v171 quad_perm:[3,3,3,3] row_mask:0xf bank_mask:0xf// 0000000242B0: 0B5756FA FF00FFFA
	v_mul_f32_dpp v172, v251, v172 quad_perm:[0,0,0,0] row_mask:0xf bank_mask:0xf// 0000000242B8: 0B5958FA FF0000FB
	v_mul_f32_dpp v173, v251, v173 quad_perm:[1,1,1,1] row_mask:0xf bank_mask:0xf// 0000000242C0: 0B5B5AFA FF0055FB
	v_mul_f32_dpp v174, v251, v174 quad_perm:[2,2,2,2] row_mask:0xf bank_mask:0xf// 0000000242C8: 0B5D5CFA FF00AAFB
	v_mul_f32_dpp v175, v251, v175 quad_perm:[3,3,3,3] row_mask:0xf bank_mask:0xf// 0000000242D0: 0B5F5EFA FF00FFFB
	v_mov_b32_e32 v48, v160                                    // 0000000242D8: 7E6003A0
	v_max3_f32 v48, v160, v161, v48                            // 0000000242DC: D1D30030 04C343A0
	v_max3_f32 v48, v162, v163, v48                            // 0000000242E4: D1D30030 04C347A2
	v_max3_f32 v48, v164, v165, v48                            // 0000000242EC: D1D30030 04C34BA4
	v_max3_f32 v48, v166, v167, v48                            // 0000000242F4: D1D30030 04C34FA6
	v_max3_f32 v48, v168, v169, v48                            // 0000000242FC: D1D30030 04C353A8
	v_max3_f32 v48, v170, v171, v48                            // 000000024304: D1D30030 04C357AA
	v_max3_f32 v48, v172, v173, v48                            // 00000002430C: D1D30030 04C35BAC
	v_max3_f32 v48, v174, v175, v48                            // 000000024314: D1D30030 04C35FAE
	ds_write_b32 v8, v48 offset:16896                          // 00000002431C: D81A4200 00003008
	v_mul_f32_e32 v232, v52, v232                              // 000000024324: 0BD1D134
	v_mul_f32_e32 v233, v52, v233                              // 000000024328: 0BD3D334
	v_mul_f32_e32 v234, v52, v234                              // 00000002432C: 0BD5D534
	v_mul_f32_e32 v235, v52, v235                              // 000000024330: 0BD7D734
	v_mul_f32_e32 v236, v52, v236                              // 000000024334: 0BD9D934
	v_mul_f32_e32 v237, v52, v237                              // 000000024338: 0BDBDB34
	v_mul_f32_e32 v238, v52, v238                              // 00000002433C: 0BDDDD34
	v_mul_f32_e32 v239, v52, v239                              // 000000024340: 0BDFDF34
	s_waitcnt lgkmcnt(0)                                       // 000000024344: BF8CC07F
	s_barrier                                                  // 000000024348: BF8A0000
	ds_read_b32 v64, v7 offset:16896                           // 00000002434C: D86C4200 40000007
	ds_read_b32 v65, v7 offset:16960                           // 000000024354: D86C4240 41000007
	ds_read_b32 v66, v7 offset:17024                           // 00000002435C: D86C4280 42000007
	ds_read_b32 v67, v7 offset:17088                           // 000000024364: D86C42C0 43000007
	ds_read_b32 v68, v7 offset:17152                           // 00000002436C: D86C4300 44000007
	ds_read_b32 v69, v7 offset:17216                           // 000000024374: D86C4340 45000007
	ds_read_b32 v70, v7 offset:17280                           // 00000002437C: D86C4380 46000007
	ds_read_b32 v71, v7 offset:17344                           // 000000024384: D86C43C0 47000007
	ds_read_b32 v72, v7 offset:17408                           // 00000002438C: D86C4400 48000007
	ds_read_b32 v73, v7 offset:17472                           // 000000024394: D86C4440 49000007
	ds_read_b32 v74, v7 offset:17536                           // 00000002439C: D86C4480 4A000007
	ds_read_b32 v75, v7 offset:17600                           // 0000000243A4: D86C44C0 4B000007
	ds_read_b32 v76, v7 offset:17664                           // 0000000243AC: D86C4500 4C000007
	ds_read_b32 v77, v7 offset:17728                           // 0000000243B4: D86C4540 4D000007
	ds_read_b32 v78, v7 offset:17792                           // 0000000243BC: D86C4580 4E000007
	ds_read_b32 v79, v7 offset:17856                           // 0000000243C4: D86C45C0 4F000007
	v_cvt_f32_i32_e32 v200, v200                               // 0000000243CC: 7F900BC8
	v_cvt_f32_i32_e32 v201, v201                               // 0000000243D0: 7F920BC9
	v_cvt_f32_i32_e32 v202, v202                               // 0000000243D4: 7F940BCA
	v_cvt_f32_i32_e32 v203, v203                               // 0000000243D8: 7F960BCB
	v_cvt_f32_i32_e32 v204, v204                               // 0000000243DC: 7F980BCC
	v_cvt_f32_i32_e32 v205, v205                               // 0000000243E0: 7F9A0BCD
	v_cvt_f32_i32_e32 v206, v206                               // 0000000243E4: 7F9C0BCE
	v_cvt_f32_i32_e32 v207, v207                               // 0000000243E8: 7F9E0BCF
	v_mul_f32_e32 v200, v47, v200                              // 0000000243EC: 0B91912F
	v_mul_f32_e32 v201, v47, v201                              // 0000000243F0: 0B93932F
	v_mul_f32_e32 v202, v47, v202                              // 0000000243F4: 0B95952F
	v_mul_f32_e32 v203, v47, v203                              // 0000000243F8: 0B97972F
	v_mul_f32_e32 v204, v47, v204                              // 0000000243FC: 0B99992F
	v_mul_f32_e32 v205, v47, v205                              // 000000024400: 0B9B9B2F
	v_mul_f32_e32 v206, v47, v206                              // 000000024404: 0B9D9D2F
	v_mul_f32_e32 v207, v47, v207                              // 000000024408: 0B9F9F2F
	s_waitcnt lgkmcnt(0)                                       // 00000002440C: BF8CC07F
	v_max3_f32 v48, v64, v65, v48                              // 000000024410: D1D30030 04C28340
	v_max3_f32 v48, v66, v67, v48                              // 000000024418: D1D30030 04C28742
	v_max3_f32 v48, v68, v69, v48                              // 000000024420: D1D30030 04C28B44
	v_max3_f32 v48, v70, v71, v48                              // 000000024428: D1D30030 04C28F46
	v_max3_f32 v48, v72, v73, v48                              // 000000024430: D1D30030 04C29348
	v_max3_f32 v48, v74, v75, v48                              // 000000024438: D1D30030 04C2974A
	v_max3_f32 v48, v76, v77, v48                              // 000000024440: D1D30030 04C29B4C
	v_max3_f32 v48, v78, v79, v48                              // 000000024448: D1D30030 04C29F4E
	v_mov_b32_e32 v64, 0xff800000                              // 000000024450: 7E8002FF FF800000
	v_cmp_eq_u32_e64 s[40:41], v64, v14                        // 000000024458: D0CA0028 00021D40
	s_nop 1                                                    // 000000024460: BF800001
	v_max_f32_e32 v15, v48, v14                                // 000000024464: 161E1D30
	v_mul_f32_e32 v53, s64, v15                                // 000000024468: 0A6A1E40
	v_fma_f32 v160, v160, s64, -v53                            // 00000002446C: D1CB00A0 84D481A0
	v_fma_f32 v161, v161, s64, -v53                            // 000000024474: D1CB00A1 84D481A1
	v_fma_f32 v162, v162, s64, -v53                            // 00000002447C: D1CB00A2 84D481A2
	v_fma_f32 v163, v163, s64, -v53                            // 000000024484: D1CB00A3 84D481A3
	v_fma_f32 v164, v164, s64, -v53                            // 00000002448C: D1CB00A4 84D481A4
	v_fma_f32 v165, v165, s64, -v53                            // 000000024494: D1CB00A5 84D481A5
	v_fma_f32 v166, v166, s64, -v53                            // 00000002449C: D1CB00A6 84D481A6
	v_fma_f32 v167, v167, s64, -v53                            // 0000000244A4: D1CB00A7 84D481A7
	v_fma_f32 v168, v168, s64, -v53                            // 0000000244AC: D1CB00A8 84D481A8
	v_fma_f32 v169, v169, s64, -v53                            // 0000000244B4: D1CB00A9 84D481A9
	v_fma_f32 v170, v170, s64, -v53                            // 0000000244BC: D1CB00AA 84D481AA
	v_fma_f32 v171, v171, s64, -v53                            // 0000000244C4: D1CB00AB 84D481AB
	v_fma_f32 v172, v172, s64, -v53                            // 0000000244CC: D1CB00AC 84D481AC
	v_fma_f32 v173, v173, s64, -v53                            // 0000000244D4: D1CB00AD 84D481AD
	v_fma_f32 v174, v174, s64, -v53                            // 0000000244DC: D1CB00AE 84D481AE
	v_fma_f32 v175, v175, s64, -v53                            // 0000000244E4: D1CB00AF 84D481AF
	v_exp_f32_e32 v160, v160                                   // 0000000244EC: 7F4041A0
	v_exp_f32_e32 v161, v161                                   // 0000000244F0: 7F4241A1
	v_exp_f32_e32 v162, v162                                   // 0000000244F4: 7F4441A2
	v_exp_f32_e32 v163, v163                                   // 0000000244F8: 7F4641A3
	v_exp_f32_e32 v164, v164                                   // 0000000244FC: 7F4841A4
	v_exp_f32_e32 v165, v165                                   // 000000024500: 7F4A41A5
	v_exp_f32_e32 v166, v166                                   // 000000024504: 7F4C41A6
	v_exp_f32_e32 v167, v167                                   // 000000024508: 7F4E41A7
	v_exp_f32_e32 v168, v168                                   // 00000002450C: 7F5041A8
	v_exp_f32_e32 v169, v169                                   // 000000024510: 7F5241A9
	v_exp_f32_e32 v170, v170                                   // 000000024514: 7F5441AA
	v_exp_f32_e32 v171, v171                                   // 000000024518: 7F5641AB
	v_exp_f32_e32 v172, v172                                   // 00000002451C: 7F5841AC
	v_exp_f32_e32 v173, v173                                   // 000000024520: 7F5A41AD
	v_exp_f32_e32 v174, v174                                   // 000000024524: 7F5C41AE
	v_exp_f32_e32 v175, v175                                   // 000000024528: 7F5E41AF
	v_mul_f32_dpp v240, v252, v160 quad_perm:[0,0,0,0] row_mask:0xf bank_mask:0xf// 00000002452C: 0BE140FA FF0000FC
	v_mul_f32_dpp v241, v252, v161 quad_perm:[1,1,1,1] row_mask:0xf bank_mask:0xf// 000000024534: 0BE342FA FF0055FC
	v_mul_f32_dpp v242, v252, v162 quad_perm:[2,2,2,2] row_mask:0xf bank_mask:0xf// 00000002453C: 0BE544FA FF00AAFC
	v_mul_f32_dpp v243, v252, v163 quad_perm:[3,3,3,3] row_mask:0xf bank_mask:0xf// 000000024544: 0BE746FA FF00FFFC
	v_mul_f32_dpp v244, v253, v164 quad_perm:[0,0,0,0] row_mask:0xf bank_mask:0xf// 00000002454C: 0BE948FA FF0000FD
	v_mul_f32_dpp v245, v253, v165 quad_perm:[1,1,1,1] row_mask:0xf bank_mask:0xf// 000000024554: 0BEB4AFA FF0055FD
	v_mul_f32_dpp v246, v253, v166 quad_perm:[2,2,2,2] row_mask:0xf bank_mask:0xf// 00000002455C: 0BED4CFA FF00AAFD
	v_mul_f32_dpp v247, v253, v167 quad_perm:[3,3,3,3] row_mask:0xf bank_mask:0xf// 000000024564: 0BEF4EFA FF00FFFD
	v_mul_f32_dpp v248, v254, v168 quad_perm:[0,0,0,0] row_mask:0xf bank_mask:0xf// 00000002456C: 0BF150FA FF0000FE
	v_mul_f32_dpp v249, v254, v169 quad_perm:[1,1,1,1] row_mask:0xf bank_mask:0xf// 000000024574: 0BF352FA FF0055FE
	v_mul_f32_dpp v250, v254, v170 quad_perm:[2,2,2,2] row_mask:0xf bank_mask:0xf// 00000002457C: 0BF554FA FF00AAFE
	v_mul_f32_dpp v251, v254, v171 quad_perm:[3,3,3,3] row_mask:0xf bank_mask:0xf// 000000024584: 0BF756FA FF00FFFE
	v_mul_f32_dpp v252, v255, v172 quad_perm:[0,0,0,0] row_mask:0xf bank_mask:0xf// 00000002458C: 0BF958FA FF0000FF
	v_mul_f32_dpp v253, v255, v173 quad_perm:[1,1,1,1] row_mask:0xf bank_mask:0xf// 000000024594: 0BFB5AFA FF0055FF
	v_mul_f32_dpp v254, v255, v174 quad_perm:[2,2,2,2] row_mask:0xf bank_mask:0xf// 00000002459C: 0BFD5CFA FF00AAFF
	v_mul_f32_dpp v255, v255, v175 quad_perm:[3,3,3,3] row_mask:0xf bank_mask:0xf// 0000000245A4: 0BFF5EFA FF00FFFF
	v_mov_b32_e32 v48, 0x358637bd                              // 0000000245AC: 7E6002FF 358637BD
	v_max3_f32 v48, |v240|, |v241|, v48                        // 0000000245B4: D1D30330 04C3E3F0
	v_max3_f32 v48, |v242|, |v243|, v48                        // 0000000245BC: D1D30330 04C3E7F2
	v_max3_f32 v48, |v244|, |v245|, v48                        // 0000000245C4: D1D30330 04C3EBF4
	v_max3_f32 v48, |v246|, |v247|, v48                        // 0000000245CC: D1D30330 04C3EFF6
	v_max3_f32 v48, |v248|, |v249|, v48                        // 0000000245D4: D1D30330 04C3F3F8
	v_max3_f32 v48, |v250|, |v251|, v48                        // 0000000245DC: D1D30330 04C3F7FA
	v_max3_f32 v48, |v252|, |v253|, v48                        // 0000000245E4: D1D30330 04C3FBFC
	v_max3_f32 v48, |v254|, |v255|, v48                        // 0000000245EC: D1D30330 04C3FFFE
	ds_write_b32 v8, v48 offset:20992                          // 0000000245F4: D81A5200 00003008
	v_sub_f32_e32 v52, v14, v15                                // 0000000245FC: 04681F0E
	v_cndmask_b32_e64 v52, v52, 0, s[40:41]                    // 000000024600: D1000034 00A10134
	v_mov_b32_e32 v14, v15                                     // 000000024608: 7E1C030F
	v_mul_f32_e32 v52, s64, v52                                // 00000002460C: 0A686840
	v_exp_f32_e32 v52, v52                                     // 000000024610: 7E684134
	s_waitcnt lgkmcnt(0)                                       // 000000024614: BF8CC07F
	s_barrier                                                  // 000000024618: BF8A0000
	ds_read_b32 v64, v7 offset:20992                           // 00000002461C: D86C5200 40000007
	ds_read_b32 v65, v7 offset:21056                           // 000000024624: D86C5240 41000007
	ds_read_b32 v66, v7 offset:21120                           // 00000002462C: D86C5280 42000007
	ds_read_b32 v67, v7 offset:21184                           // 000000024634: D86C52C0 43000007
	ds_read_b32 v68, v7 offset:21248                           // 00000002463C: D86C5300 44000007
	ds_read_b32 v69, v7 offset:21312                           // 000000024644: D86C5340 45000007
	ds_read_b32 v70, v7 offset:21376                           // 00000002464C: D86C5380 46000007
	ds_read_b32 v71, v7 offset:21440                           // 000000024654: D86C53C0 47000007
	ds_read_b32 v72, v7 offset:21504                           // 00000002465C: D86C5400 48000007
	ds_read_b32 v73, v7 offset:21568                           // 000000024664: D86C5440 49000007
	ds_read_b32 v74, v7 offset:21632                           // 00000002466C: D86C5480 4A000007
	ds_read_b32 v75, v7 offset:21696                           // 000000024674: D86C54C0 4B000007
	ds_read_b32 v76, v7 offset:21760                           // 00000002467C: D86C5500 4C000007
	ds_read_b32 v77, v7 offset:21824                           // 000000024684: D86C5540 4D000007
	ds_read_b32 v78, v7 offset:21888                           // 00000002468C: D86C5580 4E000007
	ds_read_b32 v79, v7 offset:21952                           // 000000024694: D86C55C0 4F000007
	v_mul_f32_e32 v41, v52, v41                                // 00000002469C: 0A525334
	v_mov_b32_e32 v15, v160                                    // 0000000246A0: 7E1E03A0
	v_add_f32_e32 v15, v161, v15                               // 0000000246A4: 021E1FA1
	v_add_f32_e32 v15, v162, v15                               // 0000000246A8: 021E1FA2
	v_add_f32_e32 v15, v163, v15                               // 0000000246AC: 021E1FA3
	v_add_f32_e32 v15, v164, v15                               // 0000000246B0: 021E1FA4
	v_add_f32_e32 v15, v165, v15                               // 0000000246B4: 021E1FA5
	v_add_f32_e32 v15, v166, v15                               // 0000000246B8: 021E1FA6
	v_add_f32_e32 v15, v167, v15                               // 0000000246BC: 021E1FA7
	v_add_f32_e32 v15, v168, v15                               // 0000000246C0: 021E1FA8
	v_add_f32_e32 v15, v169, v15                               // 0000000246C4: 021E1FA9
	v_add_f32_e32 v15, v170, v15                               // 0000000246C8: 021E1FAA
	v_add_f32_e32 v15, v171, v15                               // 0000000246CC: 021E1FAB
	v_add_f32_e32 v15, v172, v15                               // 0000000246D0: 021E1FAC
	v_add_f32_e32 v15, v173, v15                               // 0000000246D4: 021E1FAD
	v_add_f32_e32 v15, v174, v15                               // 0000000246D8: 021E1FAE
	v_add_f32_e32 v15, v175, v15                               // 0000000246DC: 021E1FAF
	v_add_f32_e32 v41, v15, v41                                // 0000000246E0: 0252530F
	s_waitcnt lgkmcnt(0)                                       // 0000000246E4: BF8CC07F
	v_max3_f32 v48, |v64|, |v65|, v48                          // 0000000246E8: D1D30330 04C28340
	v_max3_f32 v48, |v66|, |v67|, v48                          // 0000000246F0: D1D30330 04C28742
	v_max3_f32 v48, |v68|, |v69|, v48                          // 0000000246F8: D1D30330 04C28B44
	v_max3_f32 v48, |v70|, |v71|, v48                          // 000000024700: D1D30330 04C28F46
	v_max3_f32 v48, |v72|, |v73|, v48                          // 000000024708: D1D30330 04C29348
	v_max3_f32 v48, |v74|, |v75|, v48                          // 000000024710: D1D30330 04C2974A
	v_max3_f32 v48, |v76|, |v77|, v48                          // 000000024718: D1D30330 04C29B4C
	v_max3_f32 v48, |v78|, |v79|, v48                          // 000000024720: D1D30330 04C29F4E
	s_nop 2                                                    // 000000024728: BF800002
	v_rcp_f32_e32 v48, v48                                     // 00000002472C: 7E604530
	s_nop 1                                                    // 000000024730: BF800001
	v_mul_f32_e32 v48, 0x42fe0000, v48                         // 000000024734: 0A6060FF 42FE0000
	v_mul_f32_e32 v160, v48, v240                              // 00000002473C: 0B41E130
	v_mul_f32_e32 v161, v48, v241                              // 000000024740: 0B43E330
	v_mul_f32_e32 v162, v48, v242                              // 000000024744: 0B45E530
	v_mul_f32_e32 v163, v48, v243                              // 000000024748: 0B47E730
	v_mul_f32_e32 v164, v48, v244                              // 00000002474C: 0B49E930
	v_mul_f32_e32 v165, v48, v245                              // 000000024750: 0B4BEB30
	v_mul_f32_e32 v166, v48, v246                              // 000000024754: 0B4DED30
	v_mul_f32_e32 v167, v48, v247                              // 000000024758: 0B4FEF30
	v_mul_f32_e32 v168, v48, v248                              // 00000002475C: 0B51F130
	v_mul_f32_e32 v169, v48, v249                              // 000000024760: 0B53F330
	v_mul_f32_e32 v170, v48, v250                              // 000000024764: 0B55F530
	v_mul_f32_e32 v171, v48, v251                              // 000000024768: 0B57F730
	v_mul_f32_e32 v172, v48, v252                              // 00000002476C: 0B59F930
	v_mul_f32_e32 v173, v48, v253                              // 000000024770: 0B5BFB30
	v_mul_f32_e32 v174, v48, v254                              // 000000024774: 0B5DFD30
	v_mul_f32_e32 v175, v48, v255                              // 000000024778: 0B5FFF30
	v_cvt_i32_f32_e32 v160, v160                               // 00000002477C: 7F4011A0
	v_cvt_i32_f32_e32 v161, v161                               // 000000024780: 7F4211A1
	v_cvt_i32_f32_e32 v162, v162                               // 000000024784: 7F4411A2
	v_cvt_i32_f32_e32 v163, v163                               // 000000024788: 7F4611A3
	v_cvt_i32_f32_e32 v164, v164                               // 00000002478C: 7F4811A4
	v_cvt_i32_f32_e32 v165, v165                               // 000000024790: 7F4A11A5
	v_cvt_i32_f32_e32 v166, v166                               // 000000024794: 7F4C11A6
	v_cvt_i32_f32_e32 v167, v167                               // 000000024798: 7F4E11A7
	v_cvt_i32_f32_e32 v168, v168                               // 00000002479C: 7F5011A8
	v_cvt_i32_f32_e32 v169, v169                               // 0000000247A0: 7F5211A9
	v_cvt_i32_f32_e32 v170, v170                               // 0000000247A4: 7F5411AA
	v_cvt_i32_f32_e32 v171, v171                               // 0000000247A8: 7F5611AB
	v_cvt_i32_f32_e32 v172, v172                               // 0000000247AC: 7F5811AC
	v_cvt_i32_f32_e32 v173, v173                               // 0000000247B0: 7F5A11AD
	v_cvt_i32_f32_e32 v174, v174                               // 0000000247B4: 7F5C11AE
	v_cvt_i32_f32_e32 v175, v175                               // 0000000247B8: 7F5E11AF
	v_perm_b32 v160, v161, v160, s53                           // 0000000247BC: D1ED00A0 00D741A1
	v_perm_b32 v160, v162, v160, s54                           // 0000000247C4: D1ED00A0 00DB41A2
	v_perm_b32 v160, v163, v160, s55                           // 0000000247CC: D1ED00A0 00DF41A3
	v_perm_b32 v161, v165, v164, s53                           // 0000000247D4: D1ED00A1 00D749A5
	v_perm_b32 v161, v166, v161, s54                           // 0000000247DC: D1ED00A1 00DB43A6
	v_perm_b32 v161, v167, v161, s55                           // 0000000247E4: D1ED00A1 00DF43A7
	v_perm_b32 v162, v169, v168, s53                           // 0000000247EC: D1ED00A2 00D751A9
	v_perm_b32 v162, v170, v162, s54                           // 0000000247F4: D1ED00A2 00DB45AA
	v_perm_b32 v162, v171, v162, s55                           // 0000000247FC: D1ED00A2 00DF45AB
	v_perm_b32 v163, v173, v172, s53                           // 000000024804: D1ED00A3 00D759AD
	v_perm_b32 v163, v174, v163, s54                           // 00000002480C: D1ED00A3 00DB47AE
	v_perm_b32 v163, v175, v163, s55                           // 000000024814: D1ED00A3 00DF47AF
	ds_write_b32 v10, v160 offset:37376                        // 00000002481C: D81A9200 0000A00A
	ds_write_b32 v10, v161 offset:38400                        // 000000024824: D81A9600 0000A10A
	ds_write_b32 v10, v162 offset:39424                        // 00000002482C: D81A9A00 0000A20A
	ds_write_b32 v10, v163 offset:40448                        // 000000024834: D81A9E00 0000A30A
	v_add_f32_e32 v232, v232, v200                             // 00000002483C: 03D191E8
	v_add_f32_e32 v233, v233, v201                             // 000000024840: 03D393E9
	v_add_f32_e32 v234, v234, v202                             // 000000024844: 03D595EA
	v_add_f32_e32 v235, v235, v203                             // 000000024848: 03D797EB
	v_add_f32_e32 v236, v236, v204                             // 00000002484C: 03D999EC
	v_add_f32_e32 v237, v237, v205                             // 000000024850: 03DB9BED
	v_add_f32_e32 v238, v238, v206                             // 000000024854: 03DD9DEE
	v_add_f32_e32 v239, v239, v207                             // 000000024858: 03DF9FEF
	v_rcp_f32_e32 v47, v48                                     // 00000002485C: 7E5E4530
	s_waitcnt lgkmcnt(0)                                       // 000000024860: BF8CC07F
	s_barrier                                                  // 000000024864: BF8A0000
	ds_read_b64 v[160:161], v9 offset:37376                    // 000000024868: D8EC9200 A0000009
	ds_read_b64 v[162:163], v9 offset:37504                    // 000000024870: D8EC9280 A2000009
	ds_read_b64 v[164:165], v9 offset:38400                    // 000000024878: D8EC9600 A4000009
	ds_read_b64 v[166:167], v9 offset:38528                    // 000000024880: D8EC9680 A6000009
	ds_read_b64 v[168:169], v9 offset:39424                    // 000000024888: D8EC9A00 A8000009
	ds_read_b64 v[170:171], v9 offset:39552                    // 000000024890: D8EC9A80 AA000009
	ds_read_b64 v[172:173], v9 offset:40448                    // 000000024898: D8EC9E00 AC000009
	ds_read_b64 v[174:175], v9 offset:40576                    // 0000000248A0: D8EC9E80 AE000009
	s_waitcnt vmcnt(15)                                        // 0000000248A8: BF8C0F7F
	v_mfma_i32_16x16x32_i8 v[176:179], a[96:97], v[112:113], 0 // 0000000248AC: D3D700B0 0A02E160
	buffer_load_dwordx4 a[80:83], v30, s[20:23], 0 offen offset:1024// 0000000248B4: E05C1400 8085501E
	v_mfma_i32_16x16x32_i8 v[176:179], a[98:99], v[114:115], v[176:179]// 0000000248BC: D3D700B0 0EC2E562
	v_mfma_i32_16x16x32_i8 v[176:179], a[100:101], v[116:117], v[176:179]// 0000000248C4: D3D700B0 0EC2E964
	v_mfma_i32_16x16x32_i8 v[176:179], a[102:103], v[118:119], v[176:179]// 0000000248CC: D3D700B0 0EC2ED66
	v_mfma_i32_16x16x32_i8 v[176:179], a[104:105], v[120:121], v[176:179]// 0000000248D4: D3D700B0 0EC2F168
	buffer_load_dwordx4 a[84:87], v31, s[20:23], 0 offen offset:1024// 0000000248DC: E05C1400 8085541F
	v_mfma_i32_16x16x32_i8 v[176:179], a[106:107], v[122:123], v[176:179]// 0000000248E4: D3D700B0 0EC2F56A
	v_mfma_i32_16x16x32_i8 v[176:179], a[108:109], v[124:125], v[176:179]// 0000000248EC: D3D700B0 0EC2F96C
	v_mfma_i32_16x16x32_i8 v[176:179], a[110:111], v[126:127], v[176:179]// 0000000248F4: D3D700B0 0EC2FD6E
	v_mfma_i32_16x16x32_i8 v[180:183], a[112:113], v[112:113], 0// 0000000248FC: D3D700B4 0A02E170
	buffer_load_dwordx4 a[88:91], v32, s[20:23], 0 offen offset:1024// 000000024904: E05C1400 80855820
	v_mfma_i32_16x16x32_i8 v[180:183], a[114:115], v[114:115], v[180:183]// 00000002490C: D3D700B4 0ED2E572
	v_mfma_i32_16x16x32_i8 v[180:183], a[116:117], v[116:117], v[180:183]// 000000024914: D3D700B4 0ED2E974
	v_mfma_i32_16x16x32_i8 v[180:183], a[118:119], v[118:119], v[180:183]// 00000002491C: D3D700B4 0ED2ED76
	v_mfma_i32_16x16x32_i8 v[180:183], a[120:121], v[120:121], v[180:183]// 000000024924: D3D700B4 0ED2F178
	buffer_load_dwordx4 a[92:95], v33, s[20:23], 0 offen offset:1024// 00000002492C: E05C1400 80855C21
	v_mfma_i32_16x16x32_i8 v[180:183], a[122:123], v[122:123], v[180:183]// 000000024934: D3D700B4 0ED2F57A
	v_mfma_i32_16x16x32_i8 v[180:183], a[124:125], v[124:125], v[180:183]// 00000002493C: D3D700B4 0ED2F97C
	s_lshr_b32 s57, s70, 4                                     // 000000024944: 8F398446
	s_add_u32 s57, 48, s57                                     // 000000024948: 803939B0
	v_mfma_i32_16x16x32_i8 v[180:183], a[126:127], v[126:127], v[180:183]// 00000002494C: D3D700B4 0ED2FD7E
	s_cmp_ge_u32 s57, s73                                      // 000000024954: BF094939
	s_cselect_b32 s56, 0, s56                                  // 000000024958: 85383880
	v_mfma_i32_16x16x32_i8 v[184:187], a[96:97], v[128:129], 0 // 00000002495C: D3D700B8 0A030160
	v_mfma_i32_16x16x32_i8 v[184:187], a[98:99], v[130:131], v[184:187]// 000000024964: D3D700B8 0EE30562
	v_mfma_i32_16x16x32_i8 v[184:187], a[100:101], v[132:133], v[184:187]// 00000002496C: D3D700B8 0EE30964
	v_mfma_i32_16x16x32_i8 v[184:187], a[102:103], v[134:135], v[184:187]// 000000024974: D3D700B8 0EE30D66
	v_mfma_i32_16x16x32_i8 v[184:187], a[104:105], v[136:137], v[184:187]// 00000002497C: D3D700B8 0EE31168
	v_mfma_i32_16x16x32_i8 v[184:187], a[106:107], v[138:139], v[184:187]// 000000024984: D3D700B8 0EE3156A
	v_mfma_i32_16x16x32_i8 v[184:187], a[108:109], v[140:141], v[184:187]// 00000002498C: D3D700B8 0EE3196C
	v_mfma_i32_16x16x32_i8 v[184:187], a[110:111], v[142:143], v[184:187]// 000000024994: D3D700B8 0EE31D6E
	v_mfma_i32_16x16x32_i8 v[188:191], a[112:113], v[128:129], 0// 00000002499C: D3D700BC 0A030170
	v_mfma_i32_16x16x32_i8 v[188:191], a[114:115], v[130:131], v[188:191]// 0000000249A4: D3D700BC 0EF30572
	v_mfma_i32_16x16x32_i8 v[188:191], a[116:117], v[132:133], v[188:191]// 0000000249AC: D3D700BC 0EF30974
	v_mfma_i32_16x16x32_i8 v[188:191], a[118:119], v[134:135], v[188:191]// 0000000249B4: D3D700BC 0EF30D76
	v_mfma_i32_16x16x32_i8 v[188:191], a[120:121], v[136:137], v[188:191]// 0000000249BC: D3D700BC 0EF31178
	v_mfma_i32_16x16x32_i8 v[188:191], a[122:123], v[138:139], v[188:191]// 0000000249C4: D3D700BC 0EF3157A
	v_mfma_i32_16x16x32_i8 v[188:191], a[124:125], v[140:141], v[188:191]// 0000000249CC: D3D700BC 0EF3197C
	v_mfma_i32_16x16x32_i8 v[188:191], a[126:127], v[142:143], v[188:191]// 0000000249D4: D3D700BC 0EF31D7E
	v_mfma_i32_16x16x32_i8 v[192:195], a[96:97], v[144:145], 0 // 0000000249DC: D3D700C0 0A032160
	v_mfma_i32_16x16x32_i8 v[192:195], a[98:99], v[146:147], v[192:195]// 0000000249E4: D3D700C0 0F032562
	v_mfma_i32_16x16x32_i8 v[192:195], a[100:101], v[148:149], v[192:195]// 0000000249EC: D3D700C0 0F032964
	v_mfma_i32_16x16x32_i8 v[192:195], a[102:103], v[150:151], v[192:195]// 0000000249F4: D3D700C0 0F032D66
	v_mfma_i32_16x16x32_i8 v[192:195], a[104:105], v[152:153], v[192:195]// 0000000249FC: D3D700C0 0F033168
	v_mfma_i32_16x16x32_i8 v[192:195], a[106:107], v[154:155], v[192:195]// 000000024A04: D3D700C0 0F03356A
	v_mfma_i32_16x16x32_i8 v[192:195], a[108:109], v[156:157], v[192:195]// 000000024A0C: D3D700C0 0F03396C
	v_mfma_i32_16x16x32_i8 v[192:195], a[110:111], v[158:159], v[192:195]// 000000024A14: D3D700C0 0F033D6E
	v_mfma_i32_16x16x32_i8 v[196:199], a[112:113], v[144:145], 0// 000000024A1C: D3D700C4 0A032170
	v_mfma_i32_16x16x32_i8 v[196:199], a[114:115], v[146:147], v[196:199]// 000000024A24: D3D700C4 0F132572
	v_mfma_i32_16x16x32_i8 v[196:199], a[116:117], v[148:149], v[196:199]// 000000024A2C: D3D700C4 0F132974
	v_mfma_i32_16x16x32_i8 v[196:199], a[118:119], v[150:151], v[196:199]// 000000024A34: D3D700C4 0F132D76
	v_mfma_i32_16x16x32_i8 v[196:199], a[120:121], v[152:153], v[196:199]// 000000024A3C: D3D700C4 0F133178
	v_mfma_i32_16x16x32_i8 v[196:199], a[122:123], v[154:155], v[196:199]// 000000024A44: D3D700C4 0F13357A
	v_mfma_i32_16x16x32_i8 v[196:199], a[124:125], v[156:157], v[196:199]// 000000024A4C: D3D700C4 0F13397C
	v_mfma_i32_16x16x32_i8 v[196:199], a[126:127], v[158:159], v[196:199]// 000000024A54: D3D700C4 0F133D7E
	v_mfma_i32_16x16x32_i8 v[200:203], a[96:97], v[160:161], 0 // 000000024A5C: D3D700C8 0A034160
	v_mfma_i32_16x16x32_i8 v[200:203], a[98:99], v[162:163], v[200:203]// 000000024A64: D3D700C8 0F234562
	v_mfma_i32_16x16x32_i8 v[200:203], a[100:101], v[164:165], v[200:203]// 000000024A6C: D3D700C8 0F234964
	v_mfma_i32_16x16x32_i8 v[200:203], a[102:103], v[166:167], v[200:203]// 000000024A74: D3D700C8 0F234D66
	v_mfma_i32_16x16x32_i8 v[200:203], a[104:105], v[168:169], v[200:203]// 000000024A7C: D3D700C8 0F235168
	v_mfma_i32_16x16x32_i8 v[200:203], a[106:107], v[170:171], v[200:203]// 000000024A84: D3D700C8 0F23556A
	v_mfma_i32_16x16x32_i8 v[200:203], a[108:109], v[172:173], v[200:203]// 000000024A8C: D3D700C8 0F23596C
	v_mfma_i32_16x16x32_i8 v[200:203], a[110:111], v[174:175], v[200:203]// 000000024A94: D3D700C8 0F235D6E
	v_mfma_i32_16x16x32_i8 v[204:207], a[112:113], v[160:161], 0// 000000024A9C: D3D700CC 0A034170
	v_mfma_i32_16x16x32_i8 v[204:207], a[114:115], v[162:163], v[204:207]// 000000024AA4: D3D700CC 0F334572
	v_mfma_i32_16x16x32_i8 v[204:207], a[116:117], v[164:165], v[204:207]// 000000024AAC: D3D700CC 0F334974
	v_mfma_i32_16x16x32_i8 v[204:207], a[118:119], v[166:167], v[204:207]// 000000024AB4: D3D700CC 0F334D76
	v_mfma_i32_16x16x32_i8 v[204:207], a[120:121], v[168:169], v[204:207]// 000000024ABC: D3D700CC 0F335178
	v_mfma_i32_16x16x32_i8 v[204:207], a[122:123], v[170:171], v[204:207]// 000000024AC4: D3D700CC 0F33557A
	v_mfma_i32_16x16x32_i8 v[204:207], a[124:125], v[172:173], v[204:207]// 000000024ACC: D3D700CC 0F33597C
	v_mfma_i32_16x16x32_i8 v[204:207], a[126:127], v[174:175], v[204:207]// 000000024AD4: D3D700CC 0F335D7E
	v_add_u32_e32 v1, s56, v1                                  // 000000024ADC: 68020238
	s_addk_i32 s70, 0x100                                      // 000000024AE0: B7460100
	s_cmp_lt_i32 s70, s71                                      // 000000024AE4: BF044746
	s_cbranch_scc0 label_785C                                  // 000000024AE8: BF84EE21
	s_branch label_785F                                        // 000000024AEC: BF82EE23

0000000000024af0 <label_8A3C>:
	s_lshr_b32 s60, s71, 4                                     // 000000024AF0: 8F3C8447
	s_cmp_eq_i32 s60, s73                                      // 000000024AF4: BF00493C
	s_cbranch_scc1 label_9F07                                  // 000000024AF8: BF8514C8
	s_lshr_b32 s60, s71, 8                                     // 000000024AFC: 8F3C8847
	s_and_b32 s60, s60, 1                                      // 000000024B00: 863C813C
	s_cmp_eq_i32 s60, 1                                        // 000000024B04: BF00813C
	s_cbranch_scc1 label_94A5                                  // 000000024B08: BF850A62
	s_waitcnt vmcnt(8) lgkmcnt(0)                              // 000000024B0C: BF8C0078
	s_barrier                                                  // 000000024B10: BF8A0000
	v_mfma_i32_16x16x32_i8 v[112:115], a[0:1], v[80:81], 0     // 000000024B14: D3D70070 0A02A100
	v_mfma_i32_16x16x32_i8 v[112:115], a[2:3], v[82:83], v[112:115]// 000000024B1C: D3D70070 0DC2A502
	v_mfma_i32_16x16x32_i8 v[112:115], a[4:5], v[84:85], v[112:115]// 000000024B24: D3D70070 0DC2A904
	v_mfma_i32_16x16x32_i8 v[112:115], a[6:7], v[86:87], v[112:115]// 000000024B2C: D3D70070 0DC2AD06
	v_mfma_i32_16x16x32_i8 v[116:119], a[8:9], v[80:81], 0     // 000000024B34: D3D70074 0A02A108
	v_mfma_i32_16x16x32_i8 v[116:119], a[10:11], v[82:83], v[116:119]// 000000024B3C: D3D70074 0DD2A50A
	v_mfma_i32_16x16x32_i8 v[116:119], a[12:13], v[84:85], v[116:119]// 000000024B44: D3D70074 0DD2A90C
	v_mfma_i32_16x16x32_i8 v[116:119], a[14:15], v[86:87], v[116:119]// 000000024B4C: D3D70074 0DD2AD0E
	v_mfma_i32_16x16x32_i8 v[120:123], a[16:17], v[80:81], 0   // 000000024B54: D3D70078 0A02A110
	v_mfma_i32_16x16x32_i8 v[120:123], a[18:19], v[82:83], v[120:123]// 000000024B5C: D3D70078 0DE2A512
	v_mfma_i32_16x16x32_i8 v[120:123], a[20:21], v[84:85], v[120:123]// 000000024B64: D3D70078 0DE2A914
	v_mfma_i32_16x16x32_i8 v[120:123], a[22:23], v[86:87], v[120:123]// 000000024B6C: D3D70078 0DE2AD16
	v_mfma_i32_16x16x32_i8 v[124:127], a[24:25], v[80:81], 0   // 000000024B74: D3D7007C 0A02A118
	v_mfma_i32_16x16x32_i8 v[124:127], a[26:27], v[82:83], v[124:127]// 000000024B7C: D3D7007C 0DF2A51A
	v_mfma_i32_16x16x32_i8 v[124:127], a[28:29], v[84:85], v[124:127]// 000000024B84: D3D7007C 0DF2A91C
	v_mfma_i32_16x16x32_i8 v[124:127], a[30:31], v[86:87], v[124:127]// 000000024B8C: D3D7007C 0DF2AD1E
	v_mfma_i32_16x16x32_i8 v[128:131], a[0:1], v[88:89], 0     // 000000024B94: D3D70080 0A02B100
	v_mfma_i32_16x16x32_i8 v[128:131], a[2:3], v[90:91], v[128:131]// 000000024B9C: D3D70080 0E02B502
	v_mfma_i32_16x16x32_i8 v[128:131], a[4:5], v[92:93], v[128:131]// 000000024BA4: D3D70080 0E02B904
	v_mfma_i32_16x16x32_i8 v[128:131], a[6:7], v[94:95], v[128:131]// 000000024BAC: D3D70080 0E02BD06
	v_mfma_i32_16x16x32_i8 v[132:135], a[8:9], v[88:89], 0     // 000000024BB4: D3D70084 0A02B108
	v_mfma_i32_16x16x32_i8 v[132:135], a[10:11], v[90:91], v[132:135]// 000000024BBC: D3D70084 0E12B50A
	v_mfma_i32_16x16x32_i8 v[132:135], a[12:13], v[92:93], v[132:135]// 000000024BC4: D3D70084 0E12B90C
	v_mfma_i32_16x16x32_i8 v[132:135], a[14:15], v[94:95], v[132:135]// 000000024BCC: D3D70084 0E12BD0E
	v_mfma_i32_16x16x32_i8 v[136:139], a[16:17], v[88:89], 0   // 000000024BD4: D3D70088 0A02B110
	v_mfma_i32_16x16x32_i8 v[136:139], a[18:19], v[90:91], v[136:139]// 000000024BDC: D3D70088 0E22B512
	v_mfma_i32_16x16x32_i8 v[136:139], a[20:21], v[92:93], v[136:139]// 000000024BE4: D3D70088 0E22B914
	v_mfma_i32_16x16x32_i8 v[136:139], a[22:23], v[94:95], v[136:139]// 000000024BEC: D3D70088 0E22BD16
	v_mfma_i32_16x16x32_i8 v[140:143], a[24:25], v[88:89], 0   // 000000024BF4: D3D7008C 0A02B118
	v_mfma_i32_16x16x32_i8 v[140:143], a[26:27], v[90:91], v[140:143]// 000000024BFC: D3D7008C 0E32B51A
	v_mfma_i32_16x16x32_i8 v[140:143], a[28:29], v[92:93], v[140:143]// 000000024C04: D3D7008C 0E32B91C
	v_mfma_i32_16x16x32_i8 v[140:143], a[30:31], v[94:95], v[140:143]// 000000024C0C: D3D7008C 0E32BD1E
	v_mfma_i32_16x16x32_i8 v[144:147], a[0:1], v[96:97], 0     // 000000024C14: D3D70090 0A02C100
	v_mfma_i32_16x16x32_i8 v[144:147], a[2:3], v[98:99], v[144:147]// 000000024C1C: D3D70090 0E42C502
	v_mfma_i32_16x16x32_i8 v[144:147], a[4:5], v[100:101], v[144:147]// 000000024C24: D3D70090 0E42C904
	v_mfma_i32_16x16x32_i8 v[144:147], a[6:7], v[102:103], v[144:147]// 000000024C2C: D3D70090 0E42CD06
	v_mfma_i32_16x16x32_i8 v[148:151], a[8:9], v[96:97], 0     // 000000024C34: D3D70094 0A02C108
	v_mfma_i32_16x16x32_i8 v[148:151], a[10:11], v[98:99], v[148:151]// 000000024C3C: D3D70094 0E52C50A
	v_mfma_i32_16x16x32_i8 v[148:151], a[12:13], v[100:101], v[148:151]// 000000024C44: D3D70094 0E52C90C
	v_mfma_i32_16x16x32_i8 v[148:151], a[14:15], v[102:103], v[148:151]// 000000024C4C: D3D70094 0E52CD0E
	v_mfma_i32_16x16x32_i8 v[152:155], a[16:17], v[96:97], 0   // 000000024C54: D3D70098 0A02C110
	v_mfma_i32_16x16x32_i8 v[152:155], a[18:19], v[98:99], v[152:155]// 000000024C5C: D3D70098 0E62C512
	v_mfma_i32_16x16x32_i8 v[152:155], a[20:21], v[100:101], v[152:155]// 000000024C64: D3D70098 0E62C914
	v_mfma_i32_16x16x32_i8 v[152:155], a[22:23], v[102:103], v[152:155]// 000000024C6C: D3D70098 0E62CD16
	v_mfma_i32_16x16x32_i8 v[156:159], a[24:25], v[96:97], 0   // 000000024C74: D3D7009C 0A02C118
	v_mfma_i32_16x16x32_i8 v[156:159], a[26:27], v[98:99], v[156:159]// 000000024C7C: D3D7009C 0E72C51A
	v_mfma_i32_16x16x32_i8 v[156:159], a[28:29], v[100:101], v[156:159]// 000000024C84: D3D7009C 0E72C91C
	v_mfma_i32_16x16x32_i8 v[156:159], a[30:31], v[102:103], v[156:159]// 000000024C8C: D3D7009C 0E72CD1E
	v_mfma_i32_16x16x32_i8 v[160:163], a[0:1], v[104:105], 0   // 000000024C94: D3D700A0 0A02D100
	v_mfma_i32_16x16x32_i8 v[160:163], a[2:3], v[106:107], v[160:163]// 000000024C9C: D3D700A0 0E82D502
	v_mfma_i32_16x16x32_i8 v[160:163], a[4:5], v[108:109], v[160:163]// 000000024CA4: D3D700A0 0E82D904
	v_mfma_i32_16x16x32_i8 v[160:163], a[6:7], v[110:111], v[160:163]// 000000024CAC: D3D700A0 0E82DD06
	v_mfma_i32_16x16x32_i8 v[164:167], a[8:9], v[104:105], 0   // 000000024CB4: D3D700A4 0A02D108
	v_mfma_i32_16x16x32_i8 v[164:167], a[10:11], v[106:107], v[164:167]// 000000024CBC: D3D700A4 0E92D50A
	v_mfma_i32_16x16x32_i8 v[164:167], a[12:13], v[108:109], v[164:167]// 000000024CC4: D3D700A4 0E92D90C
	v_mfma_i32_16x16x32_i8 v[164:167], a[14:15], v[110:111], v[164:167]// 000000024CCC: D3D700A4 0E92DD0E
	v_mfma_i32_16x16x32_i8 v[168:171], a[16:17], v[104:105], 0 // 000000024CD4: D3D700A8 0A02D110
	v_mfma_i32_16x16x32_i8 v[168:171], a[18:19], v[106:107], v[168:171]// 000000024CDC: D3D700A8 0EA2D512
	v_mfma_i32_16x16x32_i8 v[168:171], a[20:21], v[108:109], v[168:171]// 000000024CE4: D3D700A8 0EA2D914
	v_mfma_i32_16x16x32_i8 v[168:171], a[22:23], v[110:111], v[168:171]// 000000024CEC: D3D700A8 0EA2DD16
	v_mfma_i32_16x16x32_i8 v[172:175], a[24:25], v[104:105], 0 // 000000024CF4: D3D700AC 0A02D118
	v_mfma_i32_16x16x32_i8 v[172:175], a[26:27], v[106:107], v[172:175]// 000000024CFC: D3D700AC 0EB2D51A
	v_mfma_i32_16x16x32_i8 v[172:175], a[28:29], v[108:109], v[172:175]// 000000024D04: D3D700AC 0EB2D91C
	v_mfma_i32_16x16x32_i8 v[172:175], a[30:31], v[110:111], v[172:175]// 000000024D0C: D3D700AC 0EB2DD1E
	v_mov_b32_dpp v64, v42 row_shr:4 row_mask:0xf bank_mask:0xf// 000000024D14: 7E8002FA FF01142A
	v_mov_b32_dpp v65, v42 row_shl:4 row_mask:0xf bank_mask:0xf// 000000024D1C: 7E8202FA FF01042A
	v_cndmask_b32_e64 v248, v42, v64, s[44:45]                 // 000000024D24: D10000F8 00B2812A
	v_cndmask_b32_e64 v249, v65, v42, s[44:45]                 // 000000024D2C: D10000F9 00B25541
	v_mov_b32_dpp v64, v248 row_shr:8 row_mask:0xf bank_mask:0xf// 000000024D34: 7E8002FA FF0118F8
	v_mov_b32_dpp v65, v248 row_shl:8 row_mask:0xf bank_mask:0xf// 000000024D3C: 7E8202FA FF0108F8
	v_mov_b32_dpp v66, v249 row_shr:8 row_mask:0xf bank_mask:0xf// 000000024D44: 7E8402FA FF0118F9
	v_mov_b32_dpp v67, v249 row_shl:8 row_mask:0xf bank_mask:0xf// 000000024D4C: 7E8602FA FF0108F9
	v_mov_b32_e32 v68, v248                                    // 000000024D54: 7E8803F8
	v_mov_b32_e32 v69, v249                                    // 000000024D58: 7E8A03F9
	v_cndmask_b32_e64 v248, v68, v64, s[42:43]                 // 000000024D5C: D10000F8 00AA8144
	v_cndmask_b32_e64 v250, v68, v65, s[78:79]                 // 000000024D64: D10000FA 013A8344
	v_cndmask_b32_e64 v249, v69, v66, s[42:43]                 // 000000024D6C: D10000F9 00AA8545
	v_cndmask_b32_e64 v251, v69, v67, s[78:79]                 // 000000024D74: D10000FB 013A8745
	v_mov_b32_dpp v64, v57 row_shr:4 row_mask:0xf bank_mask:0xf// 000000024D7C: 7E8002FA FF011439
	v_mov_b32_dpp v65, v57 row_shl:4 row_mask:0xf bank_mask:0xf// 000000024D84: 7E8202FA FF010439
	v_cndmask_b32_e64 v252, v57, v64, s[44:45]                 // 000000024D8C: D10000FC 00B28139
	v_cndmask_b32_e64 v253, v65, v57, s[44:45]                 // 000000024D94: D10000FD 00B27341
	v_mov_b32_dpp v64, v252 row_shr:8 row_mask:0xf bank_mask:0xf// 000000024D9C: 7E8002FA FF0118FC
	v_mov_b32_dpp v65, v252 row_shl:8 row_mask:0xf bank_mask:0xf// 000000024DA4: 7E8202FA FF0108FC
	v_mov_b32_dpp v66, v253 row_shr:8 row_mask:0xf bank_mask:0xf// 000000024DAC: 7E8402FA FF0118FD
	v_mov_b32_dpp v67, v253 row_shl:8 row_mask:0xf bank_mask:0xf// 000000024DB4: 7E8602FA FF0108FD
	v_mov_b32_e32 v68, v252                                    // 000000024DBC: 7E8803FC
	v_mov_b32_e32 v69, v253                                    // 000000024DC0: 7E8A03FD
	v_cndmask_b32_e64 v252, v68, v64, s[42:43]                 // 000000024DC4: D10000FC 00AA8144
	v_cndmask_b32_e64 v254, v68, v65, s[78:79]                 // 000000024DCC: D10000FE 013A8344
	v_cndmask_b32_e64 v253, v69, v66, s[42:43]                 // 000000024DD4: D10000FD 00AA8545
	v_cndmask_b32_e64 v255, v69, v67, s[78:79]                 // 000000024DDC: D10000FF 013A8745
	v_cvt_f32_i32_e32 v112, v112                               // 000000024DE4: 7EE00B70
	v_cvt_f32_i32_e32 v113, v113                               // 000000024DE8: 7EE20B71
	v_cvt_f32_i32_e32 v114, v114                               // 000000024DEC: 7EE40B72
	v_cvt_f32_i32_e32 v115, v115                               // 000000024DF0: 7EE60B73
	v_cvt_f32_i32_e32 v116, v116                               // 000000024DF4: 7EE80B74
	v_cvt_f32_i32_e32 v117, v117                               // 000000024DF8: 7EEA0B75
	v_cvt_f32_i32_e32 v118, v118                               // 000000024DFC: 7EEC0B76
	v_cvt_f32_i32_e32 v119, v119                               // 000000024E00: 7EEE0B77
	v_cvt_f32_i32_e32 v120, v120                               // 000000024E04: 7EF00B78
	v_cvt_f32_i32_e32 v121, v121                               // 000000024E08: 7EF20B79
	v_cvt_f32_i32_e32 v122, v122                               // 000000024E0C: 7EF40B7A
	v_cvt_f32_i32_e32 v123, v123                               // 000000024E10: 7EF60B7B
	v_cvt_f32_i32_e32 v124, v124                               // 000000024E14: 7EF80B7C
	v_cvt_f32_i32_e32 v125, v125                               // 000000024E18: 7EFA0B7D
	v_cvt_f32_i32_e32 v126, v126                               // 000000024E1C: 7EFC0B7E
	v_cvt_f32_i32_e32 v127, v127                               // 000000024E20: 7EFE0B7F
	v_mul_f32_e32 v112, v18, v112                              // 000000024E24: 0AE0E112
	v_mul_f32_e32 v113, v18, v113                              // 000000024E28: 0AE2E312
	v_mul_f32_e32 v114, v18, v114                              // 000000024E2C: 0AE4E512
	v_mul_f32_e32 v115, v18, v115                              // 000000024E30: 0AE6E712
	v_mul_f32_e32 v116, v18, v116                              // 000000024E34: 0AE8E912
	v_mul_f32_e32 v117, v18, v117                              // 000000024E38: 0AEAEB12
	v_mul_f32_e32 v118, v18, v118                              // 000000024E3C: 0AECED12
	v_mul_f32_e32 v119, v18, v119                              // 000000024E40: 0AEEEF12
	v_mul_f32_e32 v120, v18, v120                              // 000000024E44: 0AF0F112
	v_mul_f32_e32 v121, v18, v121                              // 000000024E48: 0AF2F312
	v_mul_f32_e32 v122, v18, v122                              // 000000024E4C: 0AF4F512
	v_mul_f32_e32 v123, v18, v123                              // 000000024E50: 0AF6F712
	v_mul_f32_e32 v124, v18, v124                              // 000000024E54: 0AF8F912
	v_mul_f32_e32 v125, v18, v125                              // 000000024E58: 0AFAFB12
	v_mul_f32_e32 v126, v18, v126                              // 000000024E5C: 0AFCFD12
	v_mul_f32_e32 v127, v18, v127                              // 000000024E60: 0AFEFF12
	v_mul_f32_dpp v112, v248, v112 quad_perm:[0,0,0,0] row_mask:0xf bank_mask:0xf// 000000024E64: 0AE0E0FA FF0000F8
	v_mul_f32_dpp v113, v248, v113 quad_perm:[1,1,1,1] row_mask:0xf bank_mask:0xf// 000000024E6C: 0AE2E2FA FF0055F8
	v_mul_f32_dpp v114, v248, v114 quad_perm:[2,2,2,2] row_mask:0xf bank_mask:0xf// 000000024E74: 0AE4E4FA FF00AAF8
	v_mul_f32_dpp v115, v248, v115 quad_perm:[3,3,3,3] row_mask:0xf bank_mask:0xf// 000000024E7C: 0AE6E6FA FF00FFF8
	v_mul_f32_dpp v116, v249, v116 quad_perm:[0,0,0,0] row_mask:0xf bank_mask:0xf// 000000024E84: 0AE8E8FA FF0000F9
	v_mul_f32_dpp v117, v249, v117 quad_perm:[1,1,1,1] row_mask:0xf bank_mask:0xf// 000000024E8C: 0AEAEAFA FF0055F9
	v_mul_f32_dpp v118, v249, v118 quad_perm:[2,2,2,2] row_mask:0xf bank_mask:0xf// 000000024E94: 0AECECFA FF00AAF9
	v_mul_f32_dpp v119, v249, v119 quad_perm:[3,3,3,3] row_mask:0xf bank_mask:0xf// 000000024E9C: 0AEEEEFA FF00FFF9
	v_mul_f32_dpp v120, v250, v120 quad_perm:[0,0,0,0] row_mask:0xf bank_mask:0xf// 000000024EA4: 0AF0F0FA FF0000FA
	v_mul_f32_dpp v121, v250, v121 quad_perm:[1,1,1,1] row_mask:0xf bank_mask:0xf// 000000024EAC: 0AF2F2FA FF0055FA
	v_mul_f32_dpp v122, v250, v122 quad_perm:[2,2,2,2] row_mask:0xf bank_mask:0xf// 000000024EB4: 0AF4F4FA FF00AAFA
	v_mul_f32_dpp v123, v250, v123 quad_perm:[3,3,3,3] row_mask:0xf bank_mask:0xf// 000000024EBC: 0AF6F6FA FF00FFFA
	v_mul_f32_dpp v124, v251, v124 quad_perm:[0,0,0,0] row_mask:0xf bank_mask:0xf// 000000024EC4: 0AF8F8FA FF0000FB
	v_mul_f32_dpp v125, v251, v125 quad_perm:[1,1,1,1] row_mask:0xf bank_mask:0xf// 000000024ECC: 0AFAFAFA FF0055FB
	v_mul_f32_dpp v126, v251, v126 quad_perm:[2,2,2,2] row_mask:0xf bank_mask:0xf// 000000024ED4: 0AFCFCFA FF00AAFB
	v_mul_f32_dpp v127, v251, v127 quad_perm:[3,3,3,3] row_mask:0xf bank_mask:0xf// 000000024EDC: 0AFEFEFA FF00FFFB
	s_and_b32 s60, s72, 0xff                                   // 000000024EE4: 863CFF48 000000FF
	v_mov_b32_e32 v65, s60                                     // 000000024EEC: 7E82023C
	v_lshrrev_b32_e32 v240, 4, v0                              // 000000024EF0: 21E00084
	v_mul_i32_i24_e32 v240, 4, v240                            // 000000024EF4: 0DE1E084
	s_mul_i32 s60, s7, 16                                      // 000000024EF8: 923C9007
	v_add_u32_e32 v240, s60, v240                              // 000000024EFC: 69E1E03C
	v_add_u32_e32 v241, 1, v240                                // 000000024F00: 69E3E081
	v_add_u32_e32 v242, 2, v240                                // 000000024F04: 69E5E082
	v_add_u32_e32 v243, 3, v240                                // 000000024F08: 69E7E083
	v_mov_b32_e32 v64, 0xff800000                              // 000000024F0C: 7E8002FF FF800000
	v_cmp_lt_u32_e64 s[40:41], v240, v65                       // 000000024F14: D0C90028 000283F0
	v_add_u32_e32 v240, 64, v240                               // 000000024F1C: 69E1E0C0
	s_nop 0                                                    // 000000024F20: BF800000
	v_cndmask_b32_e64 v112, v64, v112, s[40:41]                // 000000024F24: D1000070 00A2E140
	v_cmp_lt_u32_e64 s[40:41], v241, v65                       // 000000024F2C: D0C90028 000283F1
	v_add_u32_e32 v241, 64, v241                               // 000000024F34: 69E3E2C0
	s_nop 0                                                    // 000000024F38: BF800000
	v_cndmask_b32_e64 v113, v64, v113, s[40:41]                // 000000024F3C: D1000071 00A2E340
	v_cmp_lt_u32_e64 s[40:41], v242, v65                       // 000000024F44: D0C90028 000283F2
	v_add_u32_e32 v242, 64, v242                               // 000000024F4C: 69E5E4C0
	s_nop 0                                                    // 000000024F50: BF800000
	v_cndmask_b32_e64 v114, v64, v114, s[40:41]                // 000000024F54: D1000072 00A2E540
	v_cmp_lt_u32_e64 s[40:41], v243, v65                       // 000000024F5C: D0C90028 000283F3
	v_add_u32_e32 v243, 64, v243                               // 000000024F64: 69E7E6C0
	s_nop 0                                                    // 000000024F68: BF800000
	v_cndmask_b32_e64 v115, v64, v115, s[40:41]                // 000000024F6C: D1000073 00A2E740
	v_cmp_lt_u32_e64 s[40:41], v240, v65                       // 000000024F74: D0C90028 000283F0
	v_add_u32_e32 v240, 64, v240                               // 000000024F7C: 69E1E0C0
	s_nop 0                                                    // 000000024F80: BF800000
	v_cndmask_b32_e64 v116, v64, v116, s[40:41]                // 000000024F84: D1000074 00A2E940
	v_cmp_lt_u32_e64 s[40:41], v241, v65                       // 000000024F8C: D0C90028 000283F1
	v_add_u32_e32 v241, 64, v241                               // 000000024F94: 69E3E2C0
	s_nop 0                                                    // 000000024F98: BF800000
	v_cndmask_b32_e64 v117, v64, v117, s[40:41]                // 000000024F9C: D1000075 00A2EB40
	v_cmp_lt_u32_e64 s[40:41], v242, v65                       // 000000024FA4: D0C90028 000283F2
	v_add_u32_e32 v242, 64, v242                               // 000000024FAC: 69E5E4C0
	s_nop 0                                                    // 000000024FB0: BF800000
	v_cndmask_b32_e64 v118, v64, v118, s[40:41]                // 000000024FB4: D1000076 00A2ED40
	v_cmp_lt_u32_e64 s[40:41], v243, v65                       // 000000024FBC: D0C90028 000283F3
	v_add_u32_e32 v243, 64, v243                               // 000000024FC4: 69E7E6C0
	s_nop 0                                                    // 000000024FC8: BF800000
	v_cndmask_b32_e64 v119, v64, v119, s[40:41]                // 000000024FCC: D1000077 00A2EF40
	v_cmp_lt_u32_e64 s[40:41], v240, v65                       // 000000024FD4: D0C90028 000283F0
	v_add_u32_e32 v240, 64, v240                               // 000000024FDC: 69E1E0C0
	s_nop 0                                                    // 000000024FE0: BF800000
	v_cndmask_b32_e64 v120, v64, v120, s[40:41]                // 000000024FE4: D1000078 00A2F140
	v_cmp_lt_u32_e64 s[40:41], v241, v65                       // 000000024FEC: D0C90028 000283F1
	v_add_u32_e32 v241, 64, v241                               // 000000024FF4: 69E3E2C0
	s_nop 0                                                    // 000000024FF8: BF800000
	v_cndmask_b32_e64 v121, v64, v121, s[40:41]                // 000000024FFC: D1000079 00A2F340
	v_cmp_lt_u32_e64 s[40:41], v242, v65                       // 000000025004: D0C90028 000283F2
	v_add_u32_e32 v242, 64, v242                               // 00000002500C: 69E5E4C0
	s_nop 0                                                    // 000000025010: BF800000
	v_cndmask_b32_e64 v122, v64, v122, s[40:41]                // 000000025014: D100007A 00A2F540
	v_cmp_lt_u32_e64 s[40:41], v243, v65                       // 00000002501C: D0C90028 000283F3
	v_add_u32_e32 v243, 64, v243                               // 000000025024: 69E7E6C0
	s_nop 0                                                    // 000000025028: BF800000
	v_cndmask_b32_e64 v123, v64, v123, s[40:41]                // 00000002502C: D100007B 00A2F740
	v_cmp_lt_u32_e64 s[40:41], v240, v65                       // 000000025034: D0C90028 000283F0
	v_add_u32_e32 v240, 64, v240                               // 00000002503C: 69E1E0C0
	s_nop 0                                                    // 000000025040: BF800000
	v_cndmask_b32_e64 v124, v64, v124, s[40:41]                // 000000025044: D100007C 00A2F940
	v_cmp_lt_u32_e64 s[40:41], v241, v65                       // 00000002504C: D0C90028 000283F1
	v_add_u32_e32 v241, 64, v241                               // 000000025054: 69E3E2C0
	s_nop 0                                                    // 000000025058: BF800000
	v_cndmask_b32_e64 v125, v64, v125, s[40:41]                // 00000002505C: D100007D 00A2FB40
	v_cmp_lt_u32_e64 s[40:41], v242, v65                       // 000000025064: D0C90028 000283F2
	v_add_u32_e32 v242, 64, v242                               // 00000002506C: 69E5E4C0
	s_nop 0                                                    // 000000025070: BF800000
	v_cndmask_b32_e64 v126, v64, v126, s[40:41]                // 000000025074: D100007E 00A2FD40
	v_cmp_lt_u32_e64 s[40:41], v243, v65                       // 00000002507C: D0C90028 000283F3
	v_add_u32_e32 v243, 64, v243                               // 000000025084: 69E7E6C0
	s_nop 0                                                    // 000000025088: BF800000
	v_cndmask_b32_e64 v127, v64, v127, s[40:41]                // 00000002508C: D100007F 00A2FF40
	v_mov_b32_e32 v48, v112                                    // 000000025094: 7E600370
	v_max3_f32 v48, v112, v113, v48                            // 000000025098: D1D30030 04C2E370
	v_max3_f32 v48, v114, v115, v48                            // 0000000250A0: D1D30030 04C2E772
	v_max3_f32 v48, v116, v117, v48                            // 0000000250A8: D1D30030 04C2EB74
	v_max3_f32 v48, v118, v119, v48                            // 0000000250B0: D1D30030 04C2EF76
	v_max3_f32 v48, v120, v121, v48                            // 0000000250B8: D1D30030 04C2F378
	v_max3_f32 v48, v122, v123, v48                            // 0000000250C0: D1D30030 04C2F77A
	v_max3_f32 v48, v124, v125, v48                            // 0000000250C8: D1D30030 04C2FB7C
	v_max3_f32 v48, v126, v127, v48                            // 0000000250D0: D1D30030 04C2FF7E
	ds_write_b32 v8, v48 offset:16896                          // 0000000250D8: D81A4200 00003008
	v_mul_u32_u24_dpp v64, v17, v54 row_newbcast:1 row_mask:0xf bank_mask:0xf// 0000000250E0: 10806CFA FF015111
	v_mul_u32_u24_dpp v65, v17, v54 row_newbcast:5 row_mask:0xf bank_mask:0xf// 0000000250E8: 10826CFA FF015511
	v_mul_u32_u24_dpp v66, v17, v54 row_newbcast:9 row_mask:0xf bank_mask:0xf// 0000000250F0: 10846CFA FF015911
	v_mul_u32_u24_dpp v67, v17, v54 row_newbcast:13 row_mask:0xf bank_mask:0xf// 0000000250F8: 10866CFA FF015D11
	v_add_u32_e32 v34, v64, v6                                 // 000000025100: 68440D40
	v_add_u32_e32 v35, v65, v6                                 // 000000025104: 68460D41
	v_add_u32_e32 v36, v66, v6                                 // 000000025108: 68480D42
	v_add_u32_e32 v37, v67, v6                                 // 00000002510C: 684A0D43
	v_mul_f32_e32 v208, v49, v208                              // 000000025110: 0BA1A131
	v_mul_f32_e32 v209, v49, v209                              // 000000025114: 0BA3A331
	v_mul_f32_e32 v210, v49, v210                              // 000000025118: 0BA5A531
	v_mul_f32_e32 v211, v49, v211                              // 00000002511C: 0BA7A731
	v_mul_f32_e32 v212, v49, v212                              // 000000025120: 0BA9A931
	v_mul_f32_e32 v213, v49, v213                              // 000000025124: 0BABAB31
	v_mul_f32_e32 v214, v49, v214                              // 000000025128: 0BADAD31
	v_mul_f32_e32 v215, v49, v215                              // 00000002512C: 0BAFAF31
	s_waitcnt lgkmcnt(0)                                       // 000000025130: BF8CC07F
	s_barrier                                                  // 000000025134: BF8A0000
	ds_read_b32 v64, v7 offset:16896                           // 000000025138: D86C4200 40000007
	ds_read_b32 v65, v7 offset:16960                           // 000000025140: D86C4240 41000007
	ds_read_b32 v66, v7 offset:17024                           // 000000025148: D86C4280 42000007
	ds_read_b32 v67, v7 offset:17088                           // 000000025150: D86C42C0 43000007
	ds_read_b32 v68, v7 offset:17152                           // 000000025158: D86C4300 44000007
	ds_read_b32 v69, v7 offset:17216                           // 000000025160: D86C4340 45000007
	ds_read_b32 v70, v7 offset:17280                           // 000000025168: D86C4380 46000007
	ds_read_b32 v71, v7 offset:17344                           // 000000025170: D86C43C0 47000007
	ds_read_b32 v72, v7 offset:17408                           // 000000025178: D86C4400 48000007
	ds_read_b32 v73, v7 offset:17472                           // 000000025180: D86C4440 49000007
	ds_read_b32 v74, v7 offset:17536                           // 000000025188: D86C4480 4A000007
	ds_read_b32 v75, v7 offset:17600                           // 000000025190: D86C44C0 4B000007
	ds_read_b32 v76, v7 offset:17664                           // 000000025198: D86C4500 4C000007
	ds_read_b32 v77, v7 offset:17728                           // 0000000251A0: D86C4540 4D000007
	ds_read_b32 v78, v7 offset:17792                           // 0000000251A8: D86C4580 4E000007
	ds_read_b32 v79, v7 offset:17856                           // 0000000251B0: D86C45C0 4F000007
	v_cvt_f32_i32_e32 v176, v176                               // 0000000251B8: 7F600BB0
	v_cvt_f32_i32_e32 v177, v177                               // 0000000251BC: 7F620BB1
	v_cvt_f32_i32_e32 v178, v178                               // 0000000251C0: 7F640BB2
	v_cvt_f32_i32_e32 v179, v179                               // 0000000251C4: 7F660BB3
	v_cvt_f32_i32_e32 v180, v180                               // 0000000251C8: 7F680BB4
	v_cvt_f32_i32_e32 v181, v181                               // 0000000251CC: 7F6A0BB5
	v_cvt_f32_i32_e32 v182, v182                               // 0000000251D0: 7F6C0BB6
	v_cvt_f32_i32_e32 v183, v183                               // 0000000251D4: 7F6E0BB7
	v_mul_f32_e32 v176, v44, v176                              // 0000000251D8: 0B61612C
	v_mul_f32_e32 v177, v44, v177                              // 0000000251DC: 0B63632C
	v_mul_f32_e32 v178, v44, v178                              // 0000000251E0: 0B65652C
	v_mul_f32_e32 v179, v44, v179                              // 0000000251E4: 0B67672C
	v_mul_f32_e32 v180, v44, v180                              // 0000000251E8: 0B69692C
	v_mul_f32_e32 v181, v44, v181                              // 0000000251EC: 0B6B6B2C
	v_mul_f32_e32 v182, v44, v182                              // 0000000251F0: 0B6D6D2C
	v_mul_f32_e32 v183, v44, v183                              // 0000000251F4: 0B6F6F2C
	s_waitcnt lgkmcnt(0)                                       // 0000000251F8: BF8CC07F
	v_max3_f32 v48, v64, v65, v48                              // 0000000251FC: D1D30030 04C28340
	v_max3_f32 v48, v66, v67, v48                              // 000000025204: D1D30030 04C28742
	v_max3_f32 v48, v68, v69, v48                              // 00000002520C: D1D30030 04C28B44
	v_max3_f32 v48, v70, v71, v48                              // 000000025214: D1D30030 04C28F46
	v_max3_f32 v48, v72, v73, v48                              // 00000002521C: D1D30030 04C29348
	v_max3_f32 v48, v74, v75, v48                              // 000000025224: D1D30030 04C2974A
	v_max3_f32 v48, v76, v77, v48                              // 00000002522C: D1D30030 04C29B4C
	v_max3_f32 v48, v78, v79, v48                              // 000000025234: D1D30030 04C29F4E
	v_mov_b32_e32 v64, 0xff800000                              // 00000002523C: 7E8002FF FF800000
	v_cmp_eq_u32_e64 s[40:41], v64, v11                        // 000000025244: D0CA0028 00021740
	s_nop 1                                                    // 00000002524C: BF800001
	v_max_f32_e32 v15, v48, v11                                // 000000025250: 161E1730
	v_mul_f32_e32 v53, s64, v15                                // 000000025254: 0A6A1E40
	v_fma_f32 v112, v112, s64, -v53                            // 000000025258: D1CB0070 84D48170
	v_fma_f32 v113, v113, s64, -v53                            // 000000025260: D1CB0071 84D48171
	v_fma_f32 v114, v114, s64, -v53                            // 000000025268: D1CB0072 84D48172
	v_fma_f32 v115, v115, s64, -v53                            // 000000025270: D1CB0073 84D48173
	v_fma_f32 v116, v116, s64, -v53                            // 000000025278: D1CB0074 84D48174
	v_fma_f32 v117, v117, s64, -v53                            // 000000025280: D1CB0075 84D48175
	v_fma_f32 v118, v118, s64, -v53                            // 000000025288: D1CB0076 84D48176
	v_fma_f32 v119, v119, s64, -v53                            // 000000025290: D1CB0077 84D48177
	v_fma_f32 v120, v120, s64, -v53                            // 000000025298: D1CB0078 84D48178
	v_fma_f32 v121, v121, s64, -v53                            // 0000000252A0: D1CB0079 84D48179
	v_fma_f32 v122, v122, s64, -v53                            // 0000000252A8: D1CB007A 84D4817A
	v_fma_f32 v123, v123, s64, -v53                            // 0000000252B0: D1CB007B 84D4817B
	v_fma_f32 v124, v124, s64, -v53                            // 0000000252B8: D1CB007C 84D4817C
	v_fma_f32 v125, v125, s64, -v53                            // 0000000252C0: D1CB007D 84D4817D
	v_fma_f32 v126, v126, s64, -v53                            // 0000000252C8: D1CB007E 84D4817E
	v_fma_f32 v127, v127, s64, -v53                            // 0000000252D0: D1CB007F 84D4817F
	v_exp_f32_e32 v112, v112                                   // 0000000252D8: 7EE04170
	v_exp_f32_e32 v113, v113                                   // 0000000252DC: 7EE24171
	v_exp_f32_e32 v114, v114                                   // 0000000252E0: 7EE44172
	v_exp_f32_e32 v115, v115                                   // 0000000252E4: 7EE64173
	v_exp_f32_e32 v116, v116                                   // 0000000252E8: 7EE84174
	v_exp_f32_e32 v117, v117                                   // 0000000252EC: 7EEA4175
	v_exp_f32_e32 v118, v118                                   // 0000000252F0: 7EEC4176
	v_exp_f32_e32 v119, v119                                   // 0000000252F4: 7EEE4177
	v_exp_f32_e32 v120, v120                                   // 0000000252F8: 7EF04178
	v_exp_f32_e32 v121, v121                                   // 0000000252FC: 7EF24179
	v_exp_f32_e32 v122, v122                                   // 000000025300: 7EF4417A
	v_exp_f32_e32 v123, v123                                   // 000000025304: 7EF6417B
	v_exp_f32_e32 v124, v124                                   // 000000025308: 7EF8417C
	v_exp_f32_e32 v125, v125                                   // 00000002530C: 7EFA417D
	v_exp_f32_e32 v126, v126                                   // 000000025310: 7EFC417E
	v_exp_f32_e32 v127, v127                                   // 000000025314: 7EFE417F
	v_mul_f32_dpp v240, v252, v112 quad_perm:[0,0,0,0] row_mask:0xf bank_mask:0xf// 000000025318: 0BE0E0FA FF0000FC
	v_mul_f32_dpp v241, v252, v113 quad_perm:[1,1,1,1] row_mask:0xf bank_mask:0xf// 000000025320: 0BE2E2FA FF0055FC
	v_mul_f32_dpp v242, v252, v114 quad_perm:[2,2,2,2] row_mask:0xf bank_mask:0xf// 000000025328: 0BE4E4FA FF00AAFC
	v_mul_f32_dpp v243, v252, v115 quad_perm:[3,3,3,3] row_mask:0xf bank_mask:0xf// 000000025330: 0BE6E6FA FF00FFFC
	v_mul_f32_dpp v244, v253, v116 quad_perm:[0,0,0,0] row_mask:0xf bank_mask:0xf// 000000025338: 0BE8E8FA FF0000FD
	v_mul_f32_dpp v245, v253, v117 quad_perm:[1,1,1,1] row_mask:0xf bank_mask:0xf// 000000025340: 0BEAEAFA FF0055FD
	v_mul_f32_dpp v246, v253, v118 quad_perm:[2,2,2,2] row_mask:0xf bank_mask:0xf// 000000025348: 0BECECFA FF00AAFD
	v_mul_f32_dpp v247, v253, v119 quad_perm:[3,3,3,3] row_mask:0xf bank_mask:0xf// 000000025350: 0BEEEEFA FF00FFFD
	v_mul_f32_dpp v248, v254, v120 quad_perm:[0,0,0,0] row_mask:0xf bank_mask:0xf// 000000025358: 0BF0F0FA FF0000FE
	v_mul_f32_dpp v249, v254, v121 quad_perm:[1,1,1,1] row_mask:0xf bank_mask:0xf// 000000025360: 0BF2F2FA FF0055FE
	v_mul_f32_dpp v250, v254, v122 quad_perm:[2,2,2,2] row_mask:0xf bank_mask:0xf// 000000025368: 0BF4F4FA FF00AAFE
	v_mul_f32_dpp v251, v254, v123 quad_perm:[3,3,3,3] row_mask:0xf bank_mask:0xf// 000000025370: 0BF6F6FA FF00FFFE
	v_mul_f32_dpp v252, v255, v124 quad_perm:[0,0,0,0] row_mask:0xf bank_mask:0xf// 000000025378: 0BF8F8FA FF0000FF
	v_mul_f32_dpp v253, v255, v125 quad_perm:[1,1,1,1] row_mask:0xf bank_mask:0xf// 000000025380: 0BFAFAFA FF0055FF
	v_mul_f32_dpp v254, v255, v126 quad_perm:[2,2,2,2] row_mask:0xf bank_mask:0xf// 000000025388: 0BFCFCFA FF00AAFF
	v_mul_f32_dpp v255, v255, v127 quad_perm:[3,3,3,3] row_mask:0xf bank_mask:0xf// 000000025390: 0BFEFEFA FF00FFFF
	v_mov_b32_e32 v48, 0x358637bd                              // 000000025398: 7E6002FF 358637BD
	v_max3_f32 v48, |v240|, |v241|, v48                        // 0000000253A0: D1D30330 04C3E3F0
	v_max3_f32 v48, |v242|, |v243|, v48                        // 0000000253A8: D1D30330 04C3E7F2
	v_max3_f32 v48, |v244|, |v245|, v48                        // 0000000253B0: D1D30330 04C3EBF4
	v_max3_f32 v48, |v246|, |v247|, v48                        // 0000000253B8: D1D30330 04C3EFF6
	v_max3_f32 v48, |v248|, |v249|, v48                        // 0000000253C0: D1D30330 04C3F3F8
	v_max3_f32 v48, |v250|, |v251|, v48                        // 0000000253C8: D1D30330 04C3F7FA
	v_max3_f32 v48, |v252|, |v253|, v48                        // 0000000253D0: D1D30330 04C3FBFC
	v_max3_f32 v48, |v254|, |v255|, v48                        // 0000000253D8: D1D30330 04C3FFFE
	ds_write_b32 v8, v48 offset:20992                          // 0000000253E0: D81A5200 00003008
	v_sub_f32_e32 v49, v11, v15                                // 0000000253E8: 04621F0B
	v_cndmask_b32_e64 v49, v49, 0, s[40:41]                    // 0000000253EC: D1000031 00A10131
	v_mov_b32_e32 v11, v15                                     // 0000000253F4: 7E16030F
	v_mul_f32_e32 v49, s64, v49                                // 0000000253F8: 0A626240
	v_exp_f32_e32 v49, v49                                     // 0000000253FC: 7E624131
	s_waitcnt lgkmcnt(0)                                       // 000000025400: BF8CC07F
	s_barrier                                                  // 000000025404: BF8A0000
	ds_read_b32 v64, v7 offset:20992                           // 000000025408: D86C5200 40000007
	ds_read_b32 v65, v7 offset:21056                           // 000000025410: D86C5240 41000007
	ds_read_b32 v66, v7 offset:21120                           // 000000025418: D86C5280 42000007
	ds_read_b32 v67, v7 offset:21184                           // 000000025420: D86C52C0 43000007
	ds_read_b32 v68, v7 offset:21248                           // 000000025428: D86C5300 44000007
	ds_read_b32 v69, v7 offset:21312                           // 000000025430: D86C5340 45000007
	ds_read_b32 v70, v7 offset:21376                           // 000000025438: D86C5380 46000007
	ds_read_b32 v71, v7 offset:21440                           // 000000025440: D86C53C0 47000007
	ds_read_b32 v72, v7 offset:21504                           // 000000025448: D86C5400 48000007
	ds_read_b32 v73, v7 offset:21568                           // 000000025450: D86C5440 49000007
	ds_read_b32 v74, v7 offset:21632                           // 000000025458: D86C5480 4A000007
	ds_read_b32 v75, v7 offset:21696                           // 000000025460: D86C54C0 4B000007
	ds_read_b32 v76, v7 offset:21760                           // 000000025468: D86C5500 4C000007
	ds_read_b32 v77, v7 offset:21824                           // 000000025470: D86C5540 4D000007
	ds_read_b32 v78, v7 offset:21888                           // 000000025478: D86C5580 4E000007
	ds_read_b32 v79, v7 offset:21952                           // 000000025480: D86C55C0 4F000007
	v_mul_f32_e32 v38, v49, v38                                // 000000025488: 0A4C4D31
	v_mov_b32_e32 v15, v112                                    // 00000002548C: 7E1E0370
	v_add_f32_e32 v15, v113, v15                               // 000000025490: 021E1F71
	v_add_f32_e32 v15, v114, v15                               // 000000025494: 021E1F72
	v_add_f32_e32 v15, v115, v15                               // 000000025498: 021E1F73
	v_add_f32_e32 v15, v116, v15                               // 00000002549C: 021E1F74
	v_add_f32_e32 v15, v117, v15                               // 0000000254A0: 021E1F75
	v_add_f32_e32 v15, v118, v15                               // 0000000254A4: 021E1F76
	v_add_f32_e32 v15, v119, v15                               // 0000000254A8: 021E1F77
	v_add_f32_e32 v15, v120, v15                               // 0000000254AC: 021E1F78
	v_add_f32_e32 v15, v121, v15                               // 0000000254B0: 021E1F79
	v_add_f32_e32 v15, v122, v15                               // 0000000254B4: 021E1F7A
	v_add_f32_e32 v15, v123, v15                               // 0000000254B8: 021E1F7B
	v_add_f32_e32 v15, v124, v15                               // 0000000254BC: 021E1F7C
	v_add_f32_e32 v15, v125, v15                               // 0000000254C0: 021E1F7D
	v_add_f32_e32 v15, v126, v15                               // 0000000254C4: 021E1F7E
	v_add_f32_e32 v15, v127, v15                               // 0000000254C8: 021E1F7F
	v_add_f32_e32 v38, v15, v38                                // 0000000254CC: 024C4D0F
	s_waitcnt lgkmcnt(0)                                       // 0000000254D0: BF8CC07F
	v_max3_f32 v48, |v64|, |v65|, v48                          // 0000000254D4: D1D30330 04C28340
	v_max3_f32 v48, |v66|, |v67|, v48                          // 0000000254DC: D1D30330 04C28742
	v_max3_f32 v48, |v68|, |v69|, v48                          // 0000000254E4: D1D30330 04C28B44
	v_max3_f32 v48, |v70|, |v71|, v48                          // 0000000254EC: D1D30330 04C28F46
	v_max3_f32 v48, |v72|, |v73|, v48                          // 0000000254F4: D1D30330 04C29348
	v_max3_f32 v48, |v74|, |v75|, v48                          // 0000000254FC: D1D30330 04C2974A
	v_max3_f32 v48, |v76|, |v77|, v48                          // 000000025504: D1D30330 04C29B4C
	v_max3_f32 v48, |v78|, |v79|, v48                          // 00000002550C: D1D30330 04C29F4E
	s_nop 2                                                    // 000000025514: BF800002
	v_rcp_f32_e32 v48, v48                                     // 000000025518: 7E604530
	s_nop 1                                                    // 00000002551C: BF800001
	v_mul_f32_e32 v48, 0x42fe0000, v48                         // 000000025520: 0A6060FF 42FE0000
	v_mul_f32_e32 v112, v48, v240                              // 000000025528: 0AE1E130
	v_mul_f32_e32 v113, v48, v241                              // 00000002552C: 0AE3E330
	v_mul_f32_e32 v114, v48, v242                              // 000000025530: 0AE5E530
	v_mul_f32_e32 v115, v48, v243                              // 000000025534: 0AE7E730
	v_mul_f32_e32 v116, v48, v244                              // 000000025538: 0AE9E930
	v_mul_f32_e32 v117, v48, v245                              // 00000002553C: 0AEBEB30
	v_mul_f32_e32 v118, v48, v246                              // 000000025540: 0AEDED30
	v_mul_f32_e32 v119, v48, v247                              // 000000025544: 0AEFEF30
	v_mul_f32_e32 v120, v48, v248                              // 000000025548: 0AF1F130
	v_mul_f32_e32 v121, v48, v249                              // 00000002554C: 0AF3F330
	v_mul_f32_e32 v122, v48, v250                              // 000000025550: 0AF5F530
	v_mul_f32_e32 v123, v48, v251                              // 000000025554: 0AF7F730
	v_mul_f32_e32 v124, v48, v252                              // 000000025558: 0AF9F930
	v_mul_f32_e32 v125, v48, v253                              // 00000002555C: 0AFBFB30
	v_mul_f32_e32 v126, v48, v254                              // 000000025560: 0AFDFD30
	v_mul_f32_e32 v127, v48, v255                              // 000000025564: 0AFFFF30
	v_cvt_i32_f32_e32 v112, v112                               // 000000025568: 7EE01170
	v_cvt_i32_f32_e32 v113, v113                               // 00000002556C: 7EE21171
	v_cvt_i32_f32_e32 v114, v114                               // 000000025570: 7EE41172
	v_cvt_i32_f32_e32 v115, v115                               // 000000025574: 7EE61173
	v_cvt_i32_f32_e32 v116, v116                               // 000000025578: 7EE81174
	v_cvt_i32_f32_e32 v117, v117                               // 00000002557C: 7EEA1175
	v_cvt_i32_f32_e32 v118, v118                               // 000000025580: 7EEC1176
	v_cvt_i32_f32_e32 v119, v119                               // 000000025584: 7EEE1177
	v_cvt_i32_f32_e32 v120, v120                               // 000000025588: 7EF01178
	v_cvt_i32_f32_e32 v121, v121                               // 00000002558C: 7EF21179
	v_cvt_i32_f32_e32 v122, v122                               // 000000025590: 7EF4117A
	v_cvt_i32_f32_e32 v123, v123                               // 000000025594: 7EF6117B
	v_cvt_i32_f32_e32 v124, v124                               // 000000025598: 7EF8117C
	v_cvt_i32_f32_e32 v125, v125                               // 00000002559C: 7EFA117D
	v_cvt_i32_f32_e32 v126, v126                               // 0000000255A0: 7EFC117E
	v_cvt_i32_f32_e32 v127, v127                               // 0000000255A4: 7EFE117F
	v_perm_b32 v112, v113, v112, s53                           // 0000000255A8: D1ED0070 00D6E171
	v_perm_b32 v112, v114, v112, s54                           // 0000000255B0: D1ED0070 00DAE172
	v_perm_b32 v112, v115, v112, s55                           // 0000000255B8: D1ED0070 00DEE173
	v_perm_b32 v113, v117, v116, s53                           // 0000000255C0: D1ED0071 00D6E975
	v_perm_b32 v113, v118, v113, s54                           // 0000000255C8: D1ED0071 00DAE376
	v_perm_b32 v113, v119, v113, s55                           // 0000000255D0: D1ED0071 00DEE377
	v_perm_b32 v114, v121, v120, s53                           // 0000000255D8: D1ED0072 00D6F179
	v_perm_b32 v114, v122, v114, s54                           // 0000000255E0: D1ED0072 00DAE57A
	v_perm_b32 v114, v123, v114, s55                           // 0000000255E8: D1ED0072 00DEE57B
	v_perm_b32 v115, v125, v124, s53                           // 0000000255F0: D1ED0073 00D6F97D
	v_perm_b32 v115, v126, v115, s54                           // 0000000255F8: D1ED0073 00DAE77E
	v_perm_b32 v115, v127, v115, s55                           // 000000025600: D1ED0073 00DEE77F
	ds_write_b32 v10, v112 offset:25088                        // 000000025608: D81A6200 0000700A
	ds_write_b32 v10, v113 offset:26112                        // 000000025610: D81A6600 0000710A
	ds_write_b32 v10, v114 offset:27136                        // 000000025618: D81A6A00 0000720A
	ds_write_b32 v10, v115 offset:28160                        // 000000025620: D81A6E00 0000730A
	v_add_f32_e32 v208, v208, v176                             // 000000025628: 03A161D0
	v_add_f32_e32 v209, v209, v177                             // 00000002562C: 03A363D1
	v_add_f32_e32 v210, v210, v178                             // 000000025630: 03A565D2
	v_add_f32_e32 v211, v211, v179                             // 000000025634: 03A767D3
	v_add_f32_e32 v212, v212, v180                             // 000000025638: 03A969D4
	v_add_f32_e32 v213, v213, v181                             // 00000002563C: 03AB6BD5
	v_add_f32_e32 v214, v214, v182                             // 000000025640: 03AD6DD6
	v_add_f32_e32 v215, v215, v183                             // 000000025644: 03AF6FD7
	v_rcp_f32_e32 v44, v48                                     // 000000025648: 7E584530
	s_waitcnt lgkmcnt(0)                                       // 00000002564C: BF8CC07F
	s_barrier                                                  // 000000025650: BF8A0000
	ds_read_b64 v[112:113], v9 offset:25088                    // 000000025654: D8EC6200 70000009
	ds_read_b64 v[114:115], v9 offset:25216                    // 00000002565C: D8EC6280 72000009
	ds_read_b64 v[116:117], v9 offset:26112                    // 000000025664: D8EC6600 74000009
	ds_read_b64 v[118:119], v9 offset:26240                    // 00000002566C: D8EC6680 76000009
	ds_read_b64 v[120:121], v9 offset:27136                    // 000000025674: D8EC6A00 78000009
	ds_read_b64 v[122:123], v9 offset:27264                    // 00000002567C: D8EC6A80 7A000009
	ds_read_b64 v[124:125], v9 offset:28160                    // 000000025684: D8EC6E00 7C000009
	ds_read_b64 v[126:127], v9 offset:28288                    // 00000002568C: D8EC6E80 7E000009
	v_mov_b32_dpp v64, v42 row_shr:4 row_mask:0xf bank_mask:0xf// 000000025694: 7E8002FA FF01142A
	v_mov_b32_dpp v65, v42 row_shl:4 row_mask:0xf bank_mask:0xf// 00000002569C: 7E8202FA FF01042A
	v_cndmask_b32_e64 v248, v42, v64, s[44:45]                 // 0000000256A4: D10000F8 00B2812A
	v_cndmask_b32_e64 v249, v65, v42, s[44:45]                 // 0000000256AC: D10000F9 00B25541
	v_mov_b32_dpp v64, v248 row_shr:8 row_mask:0xf bank_mask:0xf// 0000000256B4: 7E8002FA FF0118F8
	v_mov_b32_dpp v65, v248 row_shl:8 row_mask:0xf bank_mask:0xf// 0000000256BC: 7E8202FA FF0108F8
	v_mov_b32_dpp v66, v249 row_shr:8 row_mask:0xf bank_mask:0xf// 0000000256C4: 7E8402FA FF0118F9
	v_mov_b32_dpp v67, v249 row_shl:8 row_mask:0xf bank_mask:0xf// 0000000256CC: 7E8602FA FF0108F9
	v_mov_b32_e32 v68, v248                                    // 0000000256D4: 7E8803F8
	v_mov_b32_e32 v69, v249                                    // 0000000256D8: 7E8A03F9
	v_cndmask_b32_e64 v248, v68, v64, s[42:43]                 // 0000000256DC: D10000F8 00AA8144
	v_cndmask_b32_e64 v250, v68, v65, s[78:79]                 // 0000000256E4: D10000FA 013A8344
	v_cndmask_b32_e64 v249, v69, v66, s[42:43]                 // 0000000256EC: D10000F9 00AA8545
	v_cndmask_b32_e64 v251, v69, v67, s[78:79]                 // 0000000256F4: D10000FB 013A8745
	v_mov_b32_dpp v64, v57 row_shr:4 row_mask:0xf bank_mask:0xf// 0000000256FC: 7E8002FA FF011439
	v_mov_b32_dpp v65, v57 row_shl:4 row_mask:0xf bank_mask:0xf// 000000025704: 7E8202FA FF010439
	v_cndmask_b32_e64 v252, v57, v64, s[44:45]                 // 00000002570C: D10000FC 00B28139
	v_cndmask_b32_e64 v253, v65, v57, s[44:45]                 // 000000025714: D10000FD 00B27341
	v_mov_b32_dpp v64, v252 row_shr:8 row_mask:0xf bank_mask:0xf// 00000002571C: 7E8002FA FF0118FC
	v_mov_b32_dpp v65, v252 row_shl:8 row_mask:0xf bank_mask:0xf// 000000025724: 7E8202FA FF0108FC
	v_mov_b32_dpp v66, v253 row_shr:8 row_mask:0xf bank_mask:0xf// 00000002572C: 7E8402FA FF0118FD
	v_mov_b32_dpp v67, v253 row_shl:8 row_mask:0xf bank_mask:0xf// 000000025734: 7E8602FA FF0108FD
	v_mov_b32_e32 v68, v252                                    // 00000002573C: 7E8803FC
	v_mov_b32_e32 v69, v253                                    // 000000025740: 7E8A03FD
	v_cndmask_b32_e64 v252, v68, v64, s[42:43]                 // 000000025744: D10000FC 00AA8144
	v_cndmask_b32_e64 v254, v68, v65, s[78:79]                 // 00000002574C: D10000FE 013A8344
	v_cndmask_b32_e64 v253, v69, v66, s[42:43]                 // 000000025754: D10000FD 00AA8545
	v_cndmask_b32_e64 v255, v69, v67, s[78:79]                 // 00000002575C: D10000FF 013A8745
	v_cvt_f32_i32_e32 v128, v128                               // 000000025764: 7F000B80
	v_cvt_f32_i32_e32 v129, v129                               // 000000025768: 7F020B81
	v_cvt_f32_i32_e32 v130, v130                               // 00000002576C: 7F040B82
	v_cvt_f32_i32_e32 v131, v131                               // 000000025770: 7F060B83
	v_cvt_f32_i32_e32 v132, v132                               // 000000025774: 7F080B84
	v_cvt_f32_i32_e32 v133, v133                               // 000000025778: 7F0A0B85
	v_cvt_f32_i32_e32 v134, v134                               // 00000002577C: 7F0C0B86
	v_cvt_f32_i32_e32 v135, v135                               // 000000025780: 7F0E0B87
	v_cvt_f32_i32_e32 v136, v136                               // 000000025784: 7F100B88
	v_cvt_f32_i32_e32 v137, v137                               // 000000025788: 7F120B89
	v_cvt_f32_i32_e32 v138, v138                               // 00000002578C: 7F140B8A
	v_cvt_f32_i32_e32 v139, v139                               // 000000025790: 7F160B8B
	v_cvt_f32_i32_e32 v140, v140                               // 000000025794: 7F180B8C
	v_cvt_f32_i32_e32 v141, v141                               // 000000025798: 7F1A0B8D
	v_cvt_f32_i32_e32 v142, v142                               // 00000002579C: 7F1C0B8E
	v_cvt_f32_i32_e32 v143, v143                               // 0000000257A0: 7F1E0B8F
	v_mul_f32_e32 v128, v19, v128                              // 0000000257A4: 0B010113
	v_mul_f32_e32 v129, v19, v129                              // 0000000257A8: 0B030313
	v_mul_f32_e32 v130, v19, v130                              // 0000000257AC: 0B050513
	v_mul_f32_e32 v131, v19, v131                              // 0000000257B0: 0B070713
	v_mul_f32_e32 v132, v19, v132                              // 0000000257B4: 0B090913
	v_mul_f32_e32 v133, v19, v133                              // 0000000257B8: 0B0B0B13
	v_mul_f32_e32 v134, v19, v134                              // 0000000257BC: 0B0D0D13
	v_mul_f32_e32 v135, v19, v135                              // 0000000257C0: 0B0F0F13
	v_mul_f32_e32 v136, v19, v136                              // 0000000257C4: 0B111113
	v_mul_f32_e32 v137, v19, v137                              // 0000000257C8: 0B131313
	v_mul_f32_e32 v138, v19, v138                              // 0000000257CC: 0B151513
	v_mul_f32_e32 v139, v19, v139                              // 0000000257D0: 0B171713
	v_mul_f32_e32 v140, v19, v140                              // 0000000257D4: 0B191913
	v_mul_f32_e32 v141, v19, v141                              // 0000000257D8: 0B1B1B13
	v_mul_f32_e32 v142, v19, v142                              // 0000000257DC: 0B1D1D13
	v_mul_f32_e32 v143, v19, v143                              // 0000000257E0: 0B1F1F13
	v_mul_f32_dpp v128, v248, v128 quad_perm:[0,0,0,0] row_mask:0xf bank_mask:0xf// 0000000257E4: 0B0100FA FF0000F8
	v_mul_f32_dpp v129, v248, v129 quad_perm:[1,1,1,1] row_mask:0xf bank_mask:0xf// 0000000257EC: 0B0302FA FF0055F8
	v_mul_f32_dpp v130, v248, v130 quad_perm:[2,2,2,2] row_mask:0xf bank_mask:0xf// 0000000257F4: 0B0504FA FF00AAF8
	v_mul_f32_dpp v131, v248, v131 quad_perm:[3,3,3,3] row_mask:0xf bank_mask:0xf// 0000000257FC: 0B0706FA FF00FFF8
	v_mul_f32_dpp v132, v249, v132 quad_perm:[0,0,0,0] row_mask:0xf bank_mask:0xf// 000000025804: 0B0908FA FF0000F9
	v_mul_f32_dpp v133, v249, v133 quad_perm:[1,1,1,1] row_mask:0xf bank_mask:0xf// 00000002580C: 0B0B0AFA FF0055F9
	v_mul_f32_dpp v134, v249, v134 quad_perm:[2,2,2,2] row_mask:0xf bank_mask:0xf// 000000025814: 0B0D0CFA FF00AAF9
	v_mul_f32_dpp v135, v249, v135 quad_perm:[3,3,3,3] row_mask:0xf bank_mask:0xf// 00000002581C: 0B0F0EFA FF00FFF9
	v_mul_f32_dpp v136, v250, v136 quad_perm:[0,0,0,0] row_mask:0xf bank_mask:0xf// 000000025824: 0B1110FA FF0000FA
	v_mul_f32_dpp v137, v250, v137 quad_perm:[1,1,1,1] row_mask:0xf bank_mask:0xf// 00000002582C: 0B1312FA FF0055FA
	v_mul_f32_dpp v138, v250, v138 quad_perm:[2,2,2,2] row_mask:0xf bank_mask:0xf// 000000025834: 0B1514FA FF00AAFA
	v_mul_f32_dpp v139, v250, v139 quad_perm:[3,3,3,3] row_mask:0xf bank_mask:0xf// 00000002583C: 0B1716FA FF00FFFA
	v_mul_f32_dpp v140, v251, v140 quad_perm:[0,0,0,0] row_mask:0xf bank_mask:0xf// 000000025844: 0B1918FA FF0000FB
	v_mul_f32_dpp v141, v251, v141 quad_perm:[1,1,1,1] row_mask:0xf bank_mask:0xf// 00000002584C: 0B1B1AFA FF0055FB
	v_mul_f32_dpp v142, v251, v142 quad_perm:[2,2,2,2] row_mask:0xf bank_mask:0xf// 000000025854: 0B1D1CFA FF00AAFB
	v_mul_f32_dpp v143, v251, v143 quad_perm:[3,3,3,3] row_mask:0xf bank_mask:0xf// 00000002585C: 0B1F1EFA FF00FFFB
	s_and_b32 s60, s72, 0xff                                   // 000000025864: 863CFF48 000000FF
	v_mov_b32_e32 v65, s60                                     // 00000002586C: 7E82023C
	v_lshrrev_b32_e32 v240, 4, v0                              // 000000025870: 21E00084
	v_mul_i32_i24_e32 v240, 4, v240                            // 000000025874: 0DE1E084
	s_mul_i32 s60, s7, 16                                      // 000000025878: 923C9007
	v_add_u32_e32 v240, s60, v240                              // 00000002587C: 69E1E03C
	v_add_u32_e32 v241, 1, v240                                // 000000025880: 69E3E081
	v_add_u32_e32 v242, 2, v240                                // 000000025884: 69E5E082
	v_add_u32_e32 v243, 3, v240                                // 000000025888: 69E7E083
	v_mov_b32_e32 v64, 0xff800000                              // 00000002588C: 7E8002FF FF800000
	v_cmp_lt_u32_e64 s[40:41], v240, v65                       // 000000025894: D0C90028 000283F0
	v_add_u32_e32 v240, 64, v240                               // 00000002589C: 69E1E0C0
	s_nop 0                                                    // 0000000258A0: BF800000
	v_cndmask_b32_e64 v128, v64, v128, s[40:41]                // 0000000258A4: D1000080 00A30140
	v_cmp_lt_u32_e64 s[40:41], v241, v65                       // 0000000258AC: D0C90028 000283F1
	v_add_u32_e32 v241, 64, v241                               // 0000000258B4: 69E3E2C0
	s_nop 0                                                    // 0000000258B8: BF800000
	v_cndmask_b32_e64 v129, v64, v129, s[40:41]                // 0000000258BC: D1000081 00A30340
	v_cmp_lt_u32_e64 s[40:41], v242, v65                       // 0000000258C4: D0C90028 000283F2
	v_add_u32_e32 v242, 64, v242                               // 0000000258CC: 69E5E4C0
	s_nop 0                                                    // 0000000258D0: BF800000
	v_cndmask_b32_e64 v130, v64, v130, s[40:41]                // 0000000258D4: D1000082 00A30540
	v_cmp_lt_u32_e64 s[40:41], v243, v65                       // 0000000258DC: D0C90028 000283F3
	v_add_u32_e32 v243, 64, v243                               // 0000000258E4: 69E7E6C0
	s_nop 0                                                    // 0000000258E8: BF800000
	v_cndmask_b32_e64 v131, v64, v131, s[40:41]                // 0000000258EC: D1000083 00A30740
	v_cmp_lt_u32_e64 s[40:41], v240, v65                       // 0000000258F4: D0C90028 000283F0
	v_add_u32_e32 v240, 64, v240                               // 0000000258FC: 69E1E0C0
	s_nop 0                                                    // 000000025900: BF800000
	v_cndmask_b32_e64 v132, v64, v132, s[40:41]                // 000000025904: D1000084 00A30940
	v_cmp_lt_u32_e64 s[40:41], v241, v65                       // 00000002590C: D0C90028 000283F1
	v_add_u32_e32 v241, 64, v241                               // 000000025914: 69E3E2C0
	s_nop 0                                                    // 000000025918: BF800000
	v_cndmask_b32_e64 v133, v64, v133, s[40:41]                // 00000002591C: D1000085 00A30B40
	v_cmp_lt_u32_e64 s[40:41], v242, v65                       // 000000025924: D0C90028 000283F2
	v_add_u32_e32 v242, 64, v242                               // 00000002592C: 69E5E4C0
	s_nop 0                                                    // 000000025930: BF800000
	v_cndmask_b32_e64 v134, v64, v134, s[40:41]                // 000000025934: D1000086 00A30D40
	v_cmp_lt_u32_e64 s[40:41], v243, v65                       // 00000002593C: D0C90028 000283F3
	v_add_u32_e32 v243, 64, v243                               // 000000025944: 69E7E6C0
	s_nop 0                                                    // 000000025948: BF800000
	v_cndmask_b32_e64 v135, v64, v135, s[40:41]                // 00000002594C: D1000087 00A30F40
	v_cmp_lt_u32_e64 s[40:41], v240, v65                       // 000000025954: D0C90028 000283F0
	v_add_u32_e32 v240, 64, v240                               // 00000002595C: 69E1E0C0
	s_nop 0                                                    // 000000025960: BF800000
	v_cndmask_b32_e64 v136, v64, v136, s[40:41]                // 000000025964: D1000088 00A31140
	v_cmp_lt_u32_e64 s[40:41], v241, v65                       // 00000002596C: D0C90028 000283F1
	v_add_u32_e32 v241, 64, v241                               // 000000025974: 69E3E2C0
	s_nop 0                                                    // 000000025978: BF800000
	v_cndmask_b32_e64 v137, v64, v137, s[40:41]                // 00000002597C: D1000089 00A31340
	v_cmp_lt_u32_e64 s[40:41], v242, v65                       // 000000025984: D0C90028 000283F2
	v_add_u32_e32 v242, 64, v242                               // 00000002598C: 69E5E4C0
	s_nop 0                                                    // 000000025990: BF800000
	v_cndmask_b32_e64 v138, v64, v138, s[40:41]                // 000000025994: D100008A 00A31540
	v_cmp_lt_u32_e64 s[40:41], v243, v65                       // 00000002599C: D0C90028 000283F3
	v_add_u32_e32 v243, 64, v243                               // 0000000259A4: 69E7E6C0
	s_nop 0                                                    // 0000000259A8: BF800000
	v_cndmask_b32_e64 v139, v64, v139, s[40:41]                // 0000000259AC: D100008B 00A31740
	v_cmp_lt_u32_e64 s[40:41], v240, v65                       // 0000000259B4: D0C90028 000283F0
	v_add_u32_e32 v240, 64, v240                               // 0000000259BC: 69E1E0C0
	s_nop 0                                                    // 0000000259C0: BF800000
	v_cndmask_b32_e64 v140, v64, v140, s[40:41]                // 0000000259C4: D100008C 00A31940
	v_cmp_lt_u32_e64 s[40:41], v241, v65                       // 0000000259CC: D0C90028 000283F1
	v_add_u32_e32 v241, 64, v241                               // 0000000259D4: 69E3E2C0
	s_nop 0                                                    // 0000000259D8: BF800000
	v_cndmask_b32_e64 v141, v64, v141, s[40:41]                // 0000000259DC: D100008D 00A31B40
	v_cmp_lt_u32_e64 s[40:41], v242, v65                       // 0000000259E4: D0C90028 000283F2
	v_add_u32_e32 v242, 64, v242                               // 0000000259EC: 69E5E4C0
	s_nop 0                                                    // 0000000259F0: BF800000
	v_cndmask_b32_e64 v142, v64, v142, s[40:41]                // 0000000259F4: D100008E 00A31D40
	v_cmp_lt_u32_e64 s[40:41], v243, v65                       // 0000000259FC: D0C90028 000283F3
	v_add_u32_e32 v243, 64, v243                               // 000000025A04: 69E7E6C0
	s_nop 0                                                    // 000000025A08: BF800000
	v_cndmask_b32_e64 v143, v64, v143, s[40:41]                // 000000025A0C: D100008F 00A31F40
	v_mov_b32_e32 v48, v128                                    // 000000025A14: 7E600380
	v_max3_f32 v48, v128, v129, v48                            // 000000025A18: D1D30030 04C30380
	v_max3_f32 v48, v130, v131, v48                            // 000000025A20: D1D30030 04C30782
	v_max3_f32 v48, v132, v133, v48                            // 000000025A28: D1D30030 04C30B84
	v_max3_f32 v48, v134, v135, v48                            // 000000025A30: D1D30030 04C30F86
	v_max3_f32 v48, v136, v137, v48                            // 000000025A38: D1D30030 04C31388
	v_max3_f32 v48, v138, v139, v48                            // 000000025A40: D1D30030 04C3178A
	v_max3_f32 v48, v140, v141, v48                            // 000000025A48: D1D30030 04C31B8C
	v_max3_f32 v48, v142, v143, v48                            // 000000025A50: D1D30030 04C31F8E
	ds_write_b32 v8, v48 offset:16896                          // 000000025A58: D81A4200 00003008
	v_mul_f32_e32 v216, v50, v216                              // 000000025A60: 0BB1B132
	v_mul_f32_e32 v217, v50, v217                              // 000000025A64: 0BB3B332
	v_mul_f32_e32 v218, v50, v218                              // 000000025A68: 0BB5B532
	v_mul_f32_e32 v219, v50, v219                              // 000000025A6C: 0BB7B732
	v_mul_f32_e32 v220, v50, v220                              // 000000025A70: 0BB9B932
	v_mul_f32_e32 v221, v50, v221                              // 000000025A74: 0BBBBB32
	v_mul_f32_e32 v222, v50, v222                              // 000000025A78: 0BBDBD32
	v_mul_f32_e32 v223, v50, v223                              // 000000025A7C: 0BBFBF32
	s_waitcnt lgkmcnt(0)                                       // 000000025A80: BF8CC07F
	s_barrier                                                  // 000000025A84: BF8A0000
	ds_read_b32 v64, v7 offset:16896                           // 000000025A88: D86C4200 40000007
	ds_read_b32 v65, v7 offset:16960                           // 000000025A90: D86C4240 41000007
	ds_read_b32 v66, v7 offset:17024                           // 000000025A98: D86C4280 42000007
	ds_read_b32 v67, v7 offset:17088                           // 000000025AA0: D86C42C0 43000007
	ds_read_b32 v68, v7 offset:17152                           // 000000025AA8: D86C4300 44000007
	ds_read_b32 v69, v7 offset:17216                           // 000000025AB0: D86C4340 45000007
	ds_read_b32 v70, v7 offset:17280                           // 000000025AB8: D86C4380 46000007
	ds_read_b32 v71, v7 offset:17344                           // 000000025AC0: D86C43C0 47000007
	ds_read_b32 v72, v7 offset:17408                           // 000000025AC8: D86C4400 48000007
	ds_read_b32 v73, v7 offset:17472                           // 000000025AD0: D86C4440 49000007
	ds_read_b32 v74, v7 offset:17536                           // 000000025AD8: D86C4480 4A000007
	ds_read_b32 v75, v7 offset:17600                           // 000000025AE0: D86C44C0 4B000007
	ds_read_b32 v76, v7 offset:17664                           // 000000025AE8: D86C4500 4C000007
	ds_read_b32 v77, v7 offset:17728                           // 000000025AF0: D86C4540 4D000007
	ds_read_b32 v78, v7 offset:17792                           // 000000025AF8: D86C4580 4E000007
	ds_read_b32 v79, v7 offset:17856                           // 000000025B00: D86C45C0 4F000007
	v_cvt_f32_i32_e32 v184, v184                               // 000000025B08: 7F700BB8
	v_cvt_f32_i32_e32 v185, v185                               // 000000025B0C: 7F720BB9
	v_cvt_f32_i32_e32 v186, v186                               // 000000025B10: 7F740BBA
	v_cvt_f32_i32_e32 v187, v187                               // 000000025B14: 7F760BBB
	v_cvt_f32_i32_e32 v188, v188                               // 000000025B18: 7F780BBC
	v_cvt_f32_i32_e32 v189, v189                               // 000000025B1C: 7F7A0BBD
	v_cvt_f32_i32_e32 v190, v190                               // 000000025B20: 7F7C0BBE
	v_cvt_f32_i32_e32 v191, v191                               // 000000025B24: 7F7E0BBF
	v_mul_f32_e32 v184, v45, v184                              // 000000025B28: 0B71712D
	v_mul_f32_e32 v185, v45, v185                              // 000000025B2C: 0B73732D
	v_mul_f32_e32 v186, v45, v186                              // 000000025B30: 0B75752D
	v_mul_f32_e32 v187, v45, v187                              // 000000025B34: 0B77772D
	v_mul_f32_e32 v188, v45, v188                              // 000000025B38: 0B79792D
	v_mul_f32_e32 v189, v45, v189                              // 000000025B3C: 0B7B7B2D
	v_mul_f32_e32 v190, v45, v190                              // 000000025B40: 0B7D7D2D
	v_mul_f32_e32 v191, v45, v191                              // 000000025B44: 0B7F7F2D
	s_waitcnt lgkmcnt(0)                                       // 000000025B48: BF8CC07F
	v_max3_f32 v48, v64, v65, v48                              // 000000025B4C: D1D30030 04C28340
	v_max3_f32 v48, v66, v67, v48                              // 000000025B54: D1D30030 04C28742
	v_max3_f32 v48, v68, v69, v48                              // 000000025B5C: D1D30030 04C28B44
	v_max3_f32 v48, v70, v71, v48                              // 000000025B64: D1D30030 04C28F46
	v_max3_f32 v48, v72, v73, v48                              // 000000025B6C: D1D30030 04C29348
	v_max3_f32 v48, v74, v75, v48                              // 000000025B74: D1D30030 04C2974A
	v_max3_f32 v48, v76, v77, v48                              // 000000025B7C: D1D30030 04C29B4C
	v_max3_f32 v48, v78, v79, v48                              // 000000025B84: D1D30030 04C29F4E
	v_mov_b32_e32 v64, 0xff800000                              // 000000025B8C: 7E8002FF FF800000
	v_cmp_eq_u32_e64 s[40:41], v64, v12                        // 000000025B94: D0CA0028 00021940
	s_nop 1                                                    // 000000025B9C: BF800001
	v_max_f32_e32 v15, v48, v12                                // 000000025BA0: 161E1930
	v_mul_f32_e32 v53, s64, v15                                // 000000025BA4: 0A6A1E40
	v_fma_f32 v128, v128, s64, -v53                            // 000000025BA8: D1CB0080 84D48180
	v_fma_f32 v129, v129, s64, -v53                            // 000000025BB0: D1CB0081 84D48181
	v_fma_f32 v130, v130, s64, -v53                            // 000000025BB8: D1CB0082 84D48182
	v_fma_f32 v131, v131, s64, -v53                            // 000000025BC0: D1CB0083 84D48183
	v_fma_f32 v132, v132, s64, -v53                            // 000000025BC8: D1CB0084 84D48184
	v_fma_f32 v133, v133, s64, -v53                            // 000000025BD0: D1CB0085 84D48185
	v_fma_f32 v134, v134, s64, -v53                            // 000000025BD8: D1CB0086 84D48186
	v_fma_f32 v135, v135, s64, -v53                            // 000000025BE0: D1CB0087 84D48187
	v_fma_f32 v136, v136, s64, -v53                            // 000000025BE8: D1CB0088 84D48188
	v_fma_f32 v137, v137, s64, -v53                            // 000000025BF0: D1CB0089 84D48189
	v_fma_f32 v138, v138, s64, -v53                            // 000000025BF8: D1CB008A 84D4818A
	v_fma_f32 v139, v139, s64, -v53                            // 000000025C00: D1CB008B 84D4818B
	v_fma_f32 v140, v140, s64, -v53                            // 000000025C08: D1CB008C 84D4818C
	v_fma_f32 v141, v141, s64, -v53                            // 000000025C10: D1CB008D 84D4818D
	v_fma_f32 v142, v142, s64, -v53                            // 000000025C18: D1CB008E 84D4818E
	v_fma_f32 v143, v143, s64, -v53                            // 000000025C20: D1CB008F 84D4818F
	v_exp_f32_e32 v128, v128                                   // 000000025C28: 7F004180
	v_exp_f32_e32 v129, v129                                   // 000000025C2C: 7F024181
	v_exp_f32_e32 v130, v130                                   // 000000025C30: 7F044182
	v_exp_f32_e32 v131, v131                                   // 000000025C34: 7F064183
	v_exp_f32_e32 v132, v132                                   // 000000025C38: 7F084184
	v_exp_f32_e32 v133, v133                                   // 000000025C3C: 7F0A4185
	v_exp_f32_e32 v134, v134                                   // 000000025C40: 7F0C4186
	v_exp_f32_e32 v135, v135                                   // 000000025C44: 7F0E4187
	v_exp_f32_e32 v136, v136                                   // 000000025C48: 7F104188
	v_exp_f32_e32 v137, v137                                   // 000000025C4C: 7F124189
	v_exp_f32_e32 v138, v138                                   // 000000025C50: 7F14418A
	v_exp_f32_e32 v139, v139                                   // 000000025C54: 7F16418B
	v_exp_f32_e32 v140, v140                                   // 000000025C58: 7F18418C
	v_exp_f32_e32 v141, v141                                   // 000000025C5C: 7F1A418D
	v_exp_f32_e32 v142, v142                                   // 000000025C60: 7F1C418E
	v_exp_f32_e32 v143, v143                                   // 000000025C64: 7F1E418F
	v_mul_f32_dpp v240, v252, v128 quad_perm:[0,0,0,0] row_mask:0xf bank_mask:0xf// 000000025C68: 0BE100FA FF0000FC
	v_mul_f32_dpp v241, v252, v129 quad_perm:[1,1,1,1] row_mask:0xf bank_mask:0xf// 000000025C70: 0BE302FA FF0055FC
	v_mul_f32_dpp v242, v252, v130 quad_perm:[2,2,2,2] row_mask:0xf bank_mask:0xf// 000000025C78: 0BE504FA FF00AAFC
	v_mul_f32_dpp v243, v252, v131 quad_perm:[3,3,3,3] row_mask:0xf bank_mask:0xf// 000000025C80: 0BE706FA FF00FFFC
	v_mul_f32_dpp v244, v253, v132 quad_perm:[0,0,0,0] row_mask:0xf bank_mask:0xf// 000000025C88: 0BE908FA FF0000FD
	v_mul_f32_dpp v245, v253, v133 quad_perm:[1,1,1,1] row_mask:0xf bank_mask:0xf// 000000025C90: 0BEB0AFA FF0055FD
	v_mul_f32_dpp v246, v253, v134 quad_perm:[2,2,2,2] row_mask:0xf bank_mask:0xf// 000000025C98: 0BED0CFA FF00AAFD
	v_mul_f32_dpp v247, v253, v135 quad_perm:[3,3,3,3] row_mask:0xf bank_mask:0xf// 000000025CA0: 0BEF0EFA FF00FFFD
	v_mul_f32_dpp v248, v254, v136 quad_perm:[0,0,0,0] row_mask:0xf bank_mask:0xf// 000000025CA8: 0BF110FA FF0000FE
	v_mul_f32_dpp v249, v254, v137 quad_perm:[1,1,1,1] row_mask:0xf bank_mask:0xf// 000000025CB0: 0BF312FA FF0055FE
	v_mul_f32_dpp v250, v254, v138 quad_perm:[2,2,2,2] row_mask:0xf bank_mask:0xf// 000000025CB8: 0BF514FA FF00AAFE
	v_mul_f32_dpp v251, v254, v139 quad_perm:[3,3,3,3] row_mask:0xf bank_mask:0xf// 000000025CC0: 0BF716FA FF00FFFE
	v_mul_f32_dpp v252, v255, v140 quad_perm:[0,0,0,0] row_mask:0xf bank_mask:0xf// 000000025CC8: 0BF918FA FF0000FF
	v_mul_f32_dpp v253, v255, v141 quad_perm:[1,1,1,1] row_mask:0xf bank_mask:0xf// 000000025CD0: 0BFB1AFA FF0055FF
	v_mul_f32_dpp v254, v255, v142 quad_perm:[2,2,2,2] row_mask:0xf bank_mask:0xf// 000000025CD8: 0BFD1CFA FF00AAFF
	v_mul_f32_dpp v255, v255, v143 quad_perm:[3,3,3,3] row_mask:0xf bank_mask:0xf// 000000025CE0: 0BFF1EFA FF00FFFF
	v_mov_b32_e32 v48, 0x358637bd                              // 000000025CE8: 7E6002FF 358637BD
	v_max3_f32 v48, |v240|, |v241|, v48                        // 000000025CF0: D1D30330 04C3E3F0
	v_max3_f32 v48, |v242|, |v243|, v48                        // 000000025CF8: D1D30330 04C3E7F2
	v_max3_f32 v48, |v244|, |v245|, v48                        // 000000025D00: D1D30330 04C3EBF4
	v_max3_f32 v48, |v246|, |v247|, v48                        // 000000025D08: D1D30330 04C3EFF6
	v_max3_f32 v48, |v248|, |v249|, v48                        // 000000025D10: D1D30330 04C3F3F8
	v_max3_f32 v48, |v250|, |v251|, v48                        // 000000025D18: D1D30330 04C3F7FA
	v_max3_f32 v48, |v252|, |v253|, v48                        // 000000025D20: D1D30330 04C3FBFC
	v_max3_f32 v48, |v254|, |v255|, v48                        // 000000025D28: D1D30330 04C3FFFE
	ds_write_b32 v8, v48 offset:20992                          // 000000025D30: D81A5200 00003008
	v_sub_f32_e32 v50, v12, v15                                // 000000025D38: 04641F0C
	v_cndmask_b32_e64 v50, v50, 0, s[40:41]                    // 000000025D3C: D1000032 00A10132
	v_mov_b32_e32 v12, v15                                     // 000000025D44: 7E18030F
	v_mul_f32_e32 v50, s64, v50                                // 000000025D48: 0A646440
	v_exp_f32_e32 v50, v50                                     // 000000025D4C: 7E644132
	s_waitcnt lgkmcnt(0)                                       // 000000025D50: BF8CC07F
	s_barrier                                                  // 000000025D54: BF8A0000
	ds_read_b32 v64, v7 offset:20992                           // 000000025D58: D86C5200 40000007
	ds_read_b32 v65, v7 offset:21056                           // 000000025D60: D86C5240 41000007
	ds_read_b32 v66, v7 offset:21120                           // 000000025D68: D86C5280 42000007
	ds_read_b32 v67, v7 offset:21184                           // 000000025D70: D86C52C0 43000007
	ds_read_b32 v68, v7 offset:21248                           // 000000025D78: D86C5300 44000007
	ds_read_b32 v69, v7 offset:21312                           // 000000025D80: D86C5340 45000007
	ds_read_b32 v70, v7 offset:21376                           // 000000025D88: D86C5380 46000007
	ds_read_b32 v71, v7 offset:21440                           // 000000025D90: D86C53C0 47000007
	ds_read_b32 v72, v7 offset:21504                           // 000000025D98: D86C5400 48000007
	ds_read_b32 v73, v7 offset:21568                           // 000000025DA0: D86C5440 49000007
	ds_read_b32 v74, v7 offset:21632                           // 000000025DA8: D86C5480 4A000007
	ds_read_b32 v75, v7 offset:21696                           // 000000025DB0: D86C54C0 4B000007
	ds_read_b32 v76, v7 offset:21760                           // 000000025DB8: D86C5500 4C000007
	ds_read_b32 v77, v7 offset:21824                           // 000000025DC0: D86C5540 4D000007
	ds_read_b32 v78, v7 offset:21888                           // 000000025DC8: D86C5580 4E000007
	ds_read_b32 v79, v7 offset:21952                           // 000000025DD0: D86C55C0 4F000007
	v_mul_f32_e32 v39, v50, v39                                // 000000025DD8: 0A4E4F32
	v_mov_b32_e32 v15, v128                                    // 000000025DDC: 7E1E0380
	v_add_f32_e32 v15, v129, v15                               // 000000025DE0: 021E1F81
	v_add_f32_e32 v15, v130, v15                               // 000000025DE4: 021E1F82
	v_add_f32_e32 v15, v131, v15                               // 000000025DE8: 021E1F83
	v_add_f32_e32 v15, v132, v15                               // 000000025DEC: 021E1F84
	v_add_f32_e32 v15, v133, v15                               // 000000025DF0: 021E1F85
	v_add_f32_e32 v15, v134, v15                               // 000000025DF4: 021E1F86
	v_add_f32_e32 v15, v135, v15                               // 000000025DF8: 021E1F87
	v_add_f32_e32 v15, v136, v15                               // 000000025DFC: 021E1F88
	v_add_f32_e32 v15, v137, v15                               // 000000025E00: 021E1F89
	v_add_f32_e32 v15, v138, v15                               // 000000025E04: 021E1F8A
	v_add_f32_e32 v15, v139, v15                               // 000000025E08: 021E1F8B
	v_add_f32_e32 v15, v140, v15                               // 000000025E0C: 021E1F8C
	v_add_f32_e32 v15, v141, v15                               // 000000025E10: 021E1F8D
	v_add_f32_e32 v15, v142, v15                               // 000000025E14: 021E1F8E
	v_add_f32_e32 v15, v143, v15                               // 000000025E18: 021E1F8F
	v_add_f32_e32 v39, v15, v39                                // 000000025E1C: 024E4F0F
	s_waitcnt lgkmcnt(0)                                       // 000000025E20: BF8CC07F
	v_max3_f32 v48, |v64|, |v65|, v48                          // 000000025E24: D1D30330 04C28340
	v_max3_f32 v48, |v66|, |v67|, v48                          // 000000025E2C: D1D30330 04C28742
	v_max3_f32 v48, |v68|, |v69|, v48                          // 000000025E34: D1D30330 04C28B44
	v_max3_f32 v48, |v70|, |v71|, v48                          // 000000025E3C: D1D30330 04C28F46
	v_max3_f32 v48, |v72|, |v73|, v48                          // 000000025E44: D1D30330 04C29348
	v_max3_f32 v48, |v74|, |v75|, v48                          // 000000025E4C: D1D30330 04C2974A
	v_max3_f32 v48, |v76|, |v77|, v48                          // 000000025E54: D1D30330 04C29B4C
	v_max3_f32 v48, |v78|, |v79|, v48                          // 000000025E5C: D1D30330 04C29F4E
	s_nop 2                                                    // 000000025E64: BF800002
	v_rcp_f32_e32 v48, v48                                     // 000000025E68: 7E604530
	s_nop 1                                                    // 000000025E6C: BF800001
	v_mul_f32_e32 v48, 0x42fe0000, v48                         // 000000025E70: 0A6060FF 42FE0000
	v_mul_f32_e32 v128, v48, v240                              // 000000025E78: 0B01E130
	v_mul_f32_e32 v129, v48, v241                              // 000000025E7C: 0B03E330
	v_mul_f32_e32 v130, v48, v242                              // 000000025E80: 0B05E530
	v_mul_f32_e32 v131, v48, v243                              // 000000025E84: 0B07E730
	v_mul_f32_e32 v132, v48, v244                              // 000000025E88: 0B09E930
	v_mul_f32_e32 v133, v48, v245                              // 000000025E8C: 0B0BEB30
	v_mul_f32_e32 v134, v48, v246                              // 000000025E90: 0B0DED30
	v_mul_f32_e32 v135, v48, v247                              // 000000025E94: 0B0FEF30
	v_mul_f32_e32 v136, v48, v248                              // 000000025E98: 0B11F130
	v_mul_f32_e32 v137, v48, v249                              // 000000025E9C: 0B13F330
	v_mul_f32_e32 v138, v48, v250                              // 000000025EA0: 0B15F530
	v_mul_f32_e32 v139, v48, v251                              // 000000025EA4: 0B17F730
	v_mul_f32_e32 v140, v48, v252                              // 000000025EA8: 0B19F930
	v_mul_f32_e32 v141, v48, v253                              // 000000025EAC: 0B1BFB30
	v_mul_f32_e32 v142, v48, v254                              // 000000025EB0: 0B1DFD30
	v_mul_f32_e32 v143, v48, v255                              // 000000025EB4: 0B1FFF30
	v_cvt_i32_f32_e32 v128, v128                               // 000000025EB8: 7F001180
	v_cvt_i32_f32_e32 v129, v129                               // 000000025EBC: 7F021181
	v_cvt_i32_f32_e32 v130, v130                               // 000000025EC0: 7F041182
	v_cvt_i32_f32_e32 v131, v131                               // 000000025EC4: 7F061183
	v_cvt_i32_f32_e32 v132, v132                               // 000000025EC8: 7F081184
	v_cvt_i32_f32_e32 v133, v133                               // 000000025ECC: 7F0A1185
	v_cvt_i32_f32_e32 v134, v134                               // 000000025ED0: 7F0C1186
	v_cvt_i32_f32_e32 v135, v135                               // 000000025ED4: 7F0E1187
	v_cvt_i32_f32_e32 v136, v136                               // 000000025ED8: 7F101188
	v_cvt_i32_f32_e32 v137, v137                               // 000000025EDC: 7F121189
	v_cvt_i32_f32_e32 v138, v138                               // 000000025EE0: 7F14118A
	v_cvt_i32_f32_e32 v139, v139                               // 000000025EE4: 7F16118B
	v_cvt_i32_f32_e32 v140, v140                               // 000000025EE8: 7F18118C
	v_cvt_i32_f32_e32 v141, v141                               // 000000025EEC: 7F1A118D
	v_cvt_i32_f32_e32 v142, v142                               // 000000025EF0: 7F1C118E
	v_cvt_i32_f32_e32 v143, v143                               // 000000025EF4: 7F1E118F
	v_perm_b32 v128, v129, v128, s53                           // 000000025EF8: D1ED0080 00D70181
	v_perm_b32 v128, v130, v128, s54                           // 000000025F00: D1ED0080 00DB0182
	v_perm_b32 v128, v131, v128, s55                           // 000000025F08: D1ED0080 00DF0183
	v_perm_b32 v129, v133, v132, s53                           // 000000025F10: D1ED0081 00D70985
	v_perm_b32 v129, v134, v129, s54                           // 000000025F18: D1ED0081 00DB0386
	v_perm_b32 v129, v135, v129, s55                           // 000000025F20: D1ED0081 00DF0387
	v_perm_b32 v130, v137, v136, s53                           // 000000025F28: D1ED0082 00D71189
	v_perm_b32 v130, v138, v130, s54                           // 000000025F30: D1ED0082 00DB058A
	v_perm_b32 v130, v139, v130, s55                           // 000000025F38: D1ED0082 00DF058B
	v_perm_b32 v131, v141, v140, s53                           // 000000025F40: D1ED0083 00D7198D
	v_perm_b32 v131, v142, v131, s54                           // 000000025F48: D1ED0083 00DB078E
	v_perm_b32 v131, v143, v131, s55                           // 000000025F50: D1ED0083 00DF078F
	ds_write_b32 v10, v128 offset:29184                        // 000000025F58: D81A7200 0000800A
	ds_write_b32 v10, v129 offset:30208                        // 000000025F60: D81A7600 0000810A
	ds_write_b32 v10, v130 offset:31232                        // 000000025F68: D81A7A00 0000820A
	ds_write_b32 v10, v131 offset:32256                        // 000000025F70: D81A7E00 0000830A
	v_add_f32_e32 v216, v216, v184                             // 000000025F78: 03B171D8
	v_add_f32_e32 v217, v217, v185                             // 000000025F7C: 03B373D9
	v_add_f32_e32 v218, v218, v186                             // 000000025F80: 03B575DA
	v_add_f32_e32 v219, v219, v187                             // 000000025F84: 03B777DB
	v_add_f32_e32 v220, v220, v188                             // 000000025F88: 03B979DC
	v_add_f32_e32 v221, v221, v189                             // 000000025F8C: 03BB7BDD
	v_add_f32_e32 v222, v222, v190                             // 000000025F90: 03BD7DDE
	v_add_f32_e32 v223, v223, v191                             // 000000025F94: 03BF7FDF
	v_rcp_f32_e32 v45, v48                                     // 000000025F98: 7E5A4530
	s_waitcnt lgkmcnt(0)                                       // 000000025F9C: BF8CC07F
	s_barrier                                                  // 000000025FA0: BF8A0000
	ds_read_b64 v[128:129], v9 offset:29184                    // 000000025FA4: D8EC7200 80000009
	ds_read_b64 v[130:131], v9 offset:29312                    // 000000025FAC: D8EC7280 82000009
	ds_read_b64 v[132:133], v9 offset:30208                    // 000000025FB4: D8EC7600 84000009
	ds_read_b64 v[134:135], v9 offset:30336                    // 000000025FBC: D8EC7680 86000009
	ds_read_b64 v[136:137], v9 offset:31232                    // 000000025FC4: D8EC7A00 88000009
	ds_read_b64 v[138:139], v9 offset:31360                    // 000000025FCC: D8EC7A80 8A000009
	ds_read_b64 v[140:141], v9 offset:32256                    // 000000025FD4: D8EC7E00 8C000009
	ds_read_b64 v[142:143], v9 offset:32384                    // 000000025FDC: D8EC7E80 8E000009
	v_mov_b32_dpp v64, v42 row_shr:4 row_mask:0xf bank_mask:0xf// 000000025FE4: 7E8002FA FF01142A
	v_mov_b32_dpp v65, v42 row_shl:4 row_mask:0xf bank_mask:0xf// 000000025FEC: 7E8202FA FF01042A
	v_cndmask_b32_e64 v248, v42, v64, s[44:45]                 // 000000025FF4: D10000F8 00B2812A
	v_cndmask_b32_e64 v249, v65, v42, s[44:45]                 // 000000025FFC: D10000F9 00B25541
	v_mov_b32_dpp v64, v248 row_shr:8 row_mask:0xf bank_mask:0xf// 000000026004: 7E8002FA FF0118F8
	v_mov_b32_dpp v65, v248 row_shl:8 row_mask:0xf bank_mask:0xf// 00000002600C: 7E8202FA FF0108F8
	v_mov_b32_dpp v66, v249 row_shr:8 row_mask:0xf bank_mask:0xf// 000000026014: 7E8402FA FF0118F9
	v_mov_b32_dpp v67, v249 row_shl:8 row_mask:0xf bank_mask:0xf// 00000002601C: 7E8602FA FF0108F9
	v_mov_b32_e32 v68, v248                                    // 000000026024: 7E8803F8
	v_mov_b32_e32 v69, v249                                    // 000000026028: 7E8A03F9
	v_cndmask_b32_e64 v248, v68, v64, s[42:43]                 // 00000002602C: D10000F8 00AA8144
	v_cndmask_b32_e64 v250, v68, v65, s[78:79]                 // 000000026034: D10000FA 013A8344
	v_cndmask_b32_e64 v249, v69, v66, s[42:43]                 // 00000002603C: D10000F9 00AA8545
	v_cndmask_b32_e64 v251, v69, v67, s[78:79]                 // 000000026044: D10000FB 013A8745
	v_mov_b32_dpp v64, v57 row_shr:4 row_mask:0xf bank_mask:0xf// 00000002604C: 7E8002FA FF011439
	v_mov_b32_dpp v65, v57 row_shl:4 row_mask:0xf bank_mask:0xf// 000000026054: 7E8202FA FF010439
	v_cndmask_b32_e64 v252, v57, v64, s[44:45]                 // 00000002605C: D10000FC 00B28139
	v_cndmask_b32_e64 v253, v65, v57, s[44:45]                 // 000000026064: D10000FD 00B27341
	v_mov_b32_dpp v64, v252 row_shr:8 row_mask:0xf bank_mask:0xf// 00000002606C: 7E8002FA FF0118FC
	v_mov_b32_dpp v65, v252 row_shl:8 row_mask:0xf bank_mask:0xf// 000000026074: 7E8202FA FF0108FC
	v_mov_b32_dpp v66, v253 row_shr:8 row_mask:0xf bank_mask:0xf// 00000002607C: 7E8402FA FF0118FD
	v_mov_b32_dpp v67, v253 row_shl:8 row_mask:0xf bank_mask:0xf// 000000026084: 7E8602FA FF0108FD
	v_mov_b32_e32 v68, v252                                    // 00000002608C: 7E8803FC
	v_mov_b32_e32 v69, v253                                    // 000000026090: 7E8A03FD
	v_cndmask_b32_e64 v252, v68, v64, s[42:43]                 // 000000026094: D10000FC 00AA8144
	v_cndmask_b32_e64 v254, v68, v65, s[78:79]                 // 00000002609C: D10000FE 013A8344
	v_cndmask_b32_e64 v253, v69, v66, s[42:43]                 // 0000000260A4: D10000FD 00AA8545
	v_cndmask_b32_e64 v255, v69, v67, s[78:79]                 // 0000000260AC: D10000FF 013A8745
	v_cvt_f32_i32_e32 v144, v144                               // 0000000260B4: 7F200B90
	v_cvt_f32_i32_e32 v145, v145                               // 0000000260B8: 7F220B91
	v_cvt_f32_i32_e32 v146, v146                               // 0000000260BC: 7F240B92
	v_cvt_f32_i32_e32 v147, v147                               // 0000000260C0: 7F260B93
	v_cvt_f32_i32_e32 v148, v148                               // 0000000260C4: 7F280B94
	v_cvt_f32_i32_e32 v149, v149                               // 0000000260C8: 7F2A0B95
	v_cvt_f32_i32_e32 v150, v150                               // 0000000260CC: 7F2C0B96
	v_cvt_f32_i32_e32 v151, v151                               // 0000000260D0: 7F2E0B97
	v_cvt_f32_i32_e32 v152, v152                               // 0000000260D4: 7F300B98
	v_cvt_f32_i32_e32 v153, v153                               // 0000000260D8: 7F320B99
	v_cvt_f32_i32_e32 v154, v154                               // 0000000260DC: 7F340B9A
	v_cvt_f32_i32_e32 v155, v155                               // 0000000260E0: 7F360B9B
	v_cvt_f32_i32_e32 v156, v156                               // 0000000260E4: 7F380B9C
	v_cvt_f32_i32_e32 v157, v157                               // 0000000260E8: 7F3A0B9D
	v_cvt_f32_i32_e32 v158, v158                               // 0000000260EC: 7F3C0B9E
	v_cvt_f32_i32_e32 v159, v159                               // 0000000260F0: 7F3E0B9F
	v_mul_f32_e32 v144, v20, v144                              // 0000000260F4: 0B212114
	v_mul_f32_e32 v145, v20, v145                              // 0000000260F8: 0B232314
	v_mul_f32_e32 v146, v20, v146                              // 0000000260FC: 0B252514
	v_mul_f32_e32 v147, v20, v147                              // 000000026100: 0B272714
	v_mul_f32_e32 v148, v20, v148                              // 000000026104: 0B292914
	v_mul_f32_e32 v149, v20, v149                              // 000000026108: 0B2B2B14
	v_mul_f32_e32 v150, v20, v150                              // 00000002610C: 0B2D2D14
	v_mul_f32_e32 v151, v20, v151                              // 000000026110: 0B2F2F14
	v_mul_f32_e32 v152, v20, v152                              // 000000026114: 0B313114
	v_mul_f32_e32 v153, v20, v153                              // 000000026118: 0B333314
	v_mul_f32_e32 v154, v20, v154                              // 00000002611C: 0B353514
	v_mul_f32_e32 v155, v20, v155                              // 000000026120: 0B373714
	v_mul_f32_e32 v156, v20, v156                              // 000000026124: 0B393914
	v_mul_f32_e32 v157, v20, v157                              // 000000026128: 0B3B3B14
	v_mul_f32_e32 v158, v20, v158                              // 00000002612C: 0B3D3D14
	v_mul_f32_e32 v159, v20, v159                              // 000000026130: 0B3F3F14
	v_mul_f32_dpp v144, v248, v144 quad_perm:[0,0,0,0] row_mask:0xf bank_mask:0xf// 000000026134: 0B2120FA FF0000F8
	v_mul_f32_dpp v145, v248, v145 quad_perm:[1,1,1,1] row_mask:0xf bank_mask:0xf// 00000002613C: 0B2322FA FF0055F8
	v_mul_f32_dpp v146, v248, v146 quad_perm:[2,2,2,2] row_mask:0xf bank_mask:0xf// 000000026144: 0B2524FA FF00AAF8
	v_mul_f32_dpp v147, v248, v147 quad_perm:[3,3,3,3] row_mask:0xf bank_mask:0xf// 00000002614C: 0B2726FA FF00FFF8
	v_mul_f32_dpp v148, v249, v148 quad_perm:[0,0,0,0] row_mask:0xf bank_mask:0xf// 000000026154: 0B2928FA FF0000F9
	v_mul_f32_dpp v149, v249, v149 quad_perm:[1,1,1,1] row_mask:0xf bank_mask:0xf// 00000002615C: 0B2B2AFA FF0055F9
	v_mul_f32_dpp v150, v249, v150 quad_perm:[2,2,2,2] row_mask:0xf bank_mask:0xf// 000000026164: 0B2D2CFA FF00AAF9
	v_mul_f32_dpp v151, v249, v151 quad_perm:[3,3,3,3] row_mask:0xf bank_mask:0xf// 00000002616C: 0B2F2EFA FF00FFF9
	v_mul_f32_dpp v152, v250, v152 quad_perm:[0,0,0,0] row_mask:0xf bank_mask:0xf// 000000026174: 0B3130FA FF0000FA
	v_mul_f32_dpp v153, v250, v153 quad_perm:[1,1,1,1] row_mask:0xf bank_mask:0xf// 00000002617C: 0B3332FA FF0055FA
	v_mul_f32_dpp v154, v250, v154 quad_perm:[2,2,2,2] row_mask:0xf bank_mask:0xf// 000000026184: 0B3534FA FF00AAFA
	v_mul_f32_dpp v155, v250, v155 quad_perm:[3,3,3,3] row_mask:0xf bank_mask:0xf// 00000002618C: 0B3736FA FF00FFFA
	v_mul_f32_dpp v156, v251, v156 quad_perm:[0,0,0,0] row_mask:0xf bank_mask:0xf// 000000026194: 0B3938FA FF0000FB
	v_mul_f32_dpp v157, v251, v157 quad_perm:[1,1,1,1] row_mask:0xf bank_mask:0xf// 00000002619C: 0B3B3AFA FF0055FB
	v_mul_f32_dpp v158, v251, v158 quad_perm:[2,2,2,2] row_mask:0xf bank_mask:0xf// 0000000261A4: 0B3D3CFA FF00AAFB
	v_mul_f32_dpp v159, v251, v159 quad_perm:[3,3,3,3] row_mask:0xf bank_mask:0xf// 0000000261AC: 0B3F3EFA FF00FFFB
	s_and_b32 s60, s72, 0xff                                   // 0000000261B4: 863CFF48 000000FF
	v_mov_b32_e32 v65, s60                                     // 0000000261BC: 7E82023C
	v_lshrrev_b32_e32 v240, 4, v0                              // 0000000261C0: 21E00084
	v_mul_i32_i24_e32 v240, 4, v240                            // 0000000261C4: 0DE1E084
	s_mul_i32 s60, s7, 16                                      // 0000000261C8: 923C9007
	v_add_u32_e32 v240, s60, v240                              // 0000000261CC: 69E1E03C
	v_add_u32_e32 v241, 1, v240                                // 0000000261D0: 69E3E081
	v_add_u32_e32 v242, 2, v240                                // 0000000261D4: 69E5E082
	v_add_u32_e32 v243, 3, v240                                // 0000000261D8: 69E7E083
	v_mov_b32_e32 v64, 0xff800000                              // 0000000261DC: 7E8002FF FF800000
	v_cmp_lt_u32_e64 s[40:41], v240, v65                       // 0000000261E4: D0C90028 000283F0
	v_add_u32_e32 v240, 64, v240                               // 0000000261EC: 69E1E0C0
	s_nop 0                                                    // 0000000261F0: BF800000
	v_cndmask_b32_e64 v144, v64, v144, s[40:41]                // 0000000261F4: D1000090 00A32140
	v_cmp_lt_u32_e64 s[40:41], v241, v65                       // 0000000261FC: D0C90028 000283F1
	v_add_u32_e32 v241, 64, v241                               // 000000026204: 69E3E2C0
	s_nop 0                                                    // 000000026208: BF800000
	v_cndmask_b32_e64 v145, v64, v145, s[40:41]                // 00000002620C: D1000091 00A32340
	v_cmp_lt_u32_e64 s[40:41], v242, v65                       // 000000026214: D0C90028 000283F2
	v_add_u32_e32 v242, 64, v242                               // 00000002621C: 69E5E4C0
	s_nop 0                                                    // 000000026220: BF800000
	v_cndmask_b32_e64 v146, v64, v146, s[40:41]                // 000000026224: D1000092 00A32540
	v_cmp_lt_u32_e64 s[40:41], v243, v65                       // 00000002622C: D0C90028 000283F3
	v_add_u32_e32 v243, 64, v243                               // 000000026234: 69E7E6C0
	s_nop 0                                                    // 000000026238: BF800000
	v_cndmask_b32_e64 v147, v64, v147, s[40:41]                // 00000002623C: D1000093 00A32740
	v_cmp_lt_u32_e64 s[40:41], v240, v65                       // 000000026244: D0C90028 000283F0
	v_add_u32_e32 v240, 64, v240                               // 00000002624C: 69E1E0C0
	s_nop 0                                                    // 000000026250: BF800000
	v_cndmask_b32_e64 v148, v64, v148, s[40:41]                // 000000026254: D1000094 00A32940
	v_cmp_lt_u32_e64 s[40:41], v241, v65                       // 00000002625C: D0C90028 000283F1
	v_add_u32_e32 v241, 64, v241                               // 000000026264: 69E3E2C0
	s_nop 0                                                    // 000000026268: BF800000
	v_cndmask_b32_e64 v149, v64, v149, s[40:41]                // 00000002626C: D1000095 00A32B40
	v_cmp_lt_u32_e64 s[40:41], v242, v65                       // 000000026274: D0C90028 000283F2
	v_add_u32_e32 v242, 64, v242                               // 00000002627C: 69E5E4C0
	s_nop 0                                                    // 000000026280: BF800000
	v_cndmask_b32_e64 v150, v64, v150, s[40:41]                // 000000026284: D1000096 00A32D40
	v_cmp_lt_u32_e64 s[40:41], v243, v65                       // 00000002628C: D0C90028 000283F3
	v_add_u32_e32 v243, 64, v243                               // 000000026294: 69E7E6C0
	s_nop 0                                                    // 000000026298: BF800000
	v_cndmask_b32_e64 v151, v64, v151, s[40:41]                // 00000002629C: D1000097 00A32F40
	v_cmp_lt_u32_e64 s[40:41], v240, v65                       // 0000000262A4: D0C90028 000283F0
	v_add_u32_e32 v240, 64, v240                               // 0000000262AC: 69E1E0C0
	s_nop 0                                                    // 0000000262B0: BF800000
	v_cndmask_b32_e64 v152, v64, v152, s[40:41]                // 0000000262B4: D1000098 00A33140
	v_cmp_lt_u32_e64 s[40:41], v241, v65                       // 0000000262BC: D0C90028 000283F1
	v_add_u32_e32 v241, 64, v241                               // 0000000262C4: 69E3E2C0
	s_nop 0                                                    // 0000000262C8: BF800000
	v_cndmask_b32_e64 v153, v64, v153, s[40:41]                // 0000000262CC: D1000099 00A33340
	v_cmp_lt_u32_e64 s[40:41], v242, v65                       // 0000000262D4: D0C90028 000283F2
	v_add_u32_e32 v242, 64, v242                               // 0000000262DC: 69E5E4C0
	s_nop 0                                                    // 0000000262E0: BF800000
	v_cndmask_b32_e64 v154, v64, v154, s[40:41]                // 0000000262E4: D100009A 00A33540
	v_cmp_lt_u32_e64 s[40:41], v243, v65                       // 0000000262EC: D0C90028 000283F3
	v_add_u32_e32 v243, 64, v243                               // 0000000262F4: 69E7E6C0
	s_nop 0                                                    // 0000000262F8: BF800000
	v_cndmask_b32_e64 v155, v64, v155, s[40:41]                // 0000000262FC: D100009B 00A33740
	v_cmp_lt_u32_e64 s[40:41], v240, v65                       // 000000026304: D0C90028 000283F0
	v_add_u32_e32 v240, 64, v240                               // 00000002630C: 69E1E0C0
	s_nop 0                                                    // 000000026310: BF800000
	v_cndmask_b32_e64 v156, v64, v156, s[40:41]                // 000000026314: D100009C 00A33940
	v_cmp_lt_u32_e64 s[40:41], v241, v65                       // 00000002631C: D0C90028 000283F1
	v_add_u32_e32 v241, 64, v241                               // 000000026324: 69E3E2C0
	s_nop 0                                                    // 000000026328: BF800000
	v_cndmask_b32_e64 v157, v64, v157, s[40:41]                // 00000002632C: D100009D 00A33B40
	v_cmp_lt_u32_e64 s[40:41], v242, v65                       // 000000026334: D0C90028 000283F2
	v_add_u32_e32 v242, 64, v242                               // 00000002633C: 69E5E4C0
	s_nop 0                                                    // 000000026340: BF800000
	v_cndmask_b32_e64 v158, v64, v158, s[40:41]                // 000000026344: D100009E 00A33D40
	v_cmp_lt_u32_e64 s[40:41], v243, v65                       // 00000002634C: D0C90028 000283F3
	v_add_u32_e32 v243, 64, v243                               // 000000026354: 69E7E6C0
	s_nop 0                                                    // 000000026358: BF800000
	v_cndmask_b32_e64 v159, v64, v159, s[40:41]                // 00000002635C: D100009F 00A33F40
	v_mov_b32_e32 v48, v144                                    // 000000026364: 7E600390
	v_max3_f32 v48, v144, v145, v48                            // 000000026368: D1D30030 04C32390
	v_max3_f32 v48, v146, v147, v48                            // 000000026370: D1D30030 04C32792
	v_max3_f32 v48, v148, v149, v48                            // 000000026378: D1D30030 04C32B94
	v_max3_f32 v48, v150, v151, v48                            // 000000026380: D1D30030 04C32F96
	v_max3_f32 v48, v152, v153, v48                            // 000000026388: D1D30030 04C33398
	v_max3_f32 v48, v154, v155, v48                            // 000000026390: D1D30030 04C3379A
	v_max3_f32 v48, v156, v157, v48                            // 000000026398: D1D30030 04C33B9C
	v_max3_f32 v48, v158, v159, v48                            // 0000000263A0: D1D30030 04C33F9E
	ds_write_b32 v8, v48 offset:16896                          // 0000000263A8: D81A4200 00003008
	v_mul_f32_e32 v224, v51, v224                              // 0000000263B0: 0BC1C133
	v_mul_f32_e32 v225, v51, v225                              // 0000000263B4: 0BC3C333
	v_mul_f32_e32 v226, v51, v226                              // 0000000263B8: 0BC5C533
	v_mul_f32_e32 v227, v51, v227                              // 0000000263BC: 0BC7C733
	v_mul_f32_e32 v228, v51, v228                              // 0000000263C0: 0BC9C933
	v_mul_f32_e32 v229, v51, v229                              // 0000000263C4: 0BCBCB33
	v_mul_f32_e32 v230, v51, v230                              // 0000000263C8: 0BCDCD33
	v_mul_f32_e32 v231, v51, v231                              // 0000000263CC: 0BCFCF33
	s_waitcnt lgkmcnt(0)                                       // 0000000263D0: BF8CC07F
	s_barrier                                                  // 0000000263D4: BF8A0000
	ds_read_b32 v64, v7 offset:16896                           // 0000000263D8: D86C4200 40000007
	ds_read_b32 v65, v7 offset:16960                           // 0000000263E0: D86C4240 41000007
	ds_read_b32 v66, v7 offset:17024                           // 0000000263E8: D86C4280 42000007
	ds_read_b32 v67, v7 offset:17088                           // 0000000263F0: D86C42C0 43000007
	ds_read_b32 v68, v7 offset:17152                           // 0000000263F8: D86C4300 44000007
	ds_read_b32 v69, v7 offset:17216                           // 000000026400: D86C4340 45000007
	ds_read_b32 v70, v7 offset:17280                           // 000000026408: D86C4380 46000007
	ds_read_b32 v71, v7 offset:17344                           // 000000026410: D86C43C0 47000007
	ds_read_b32 v72, v7 offset:17408                           // 000000026418: D86C4400 48000007
	ds_read_b32 v73, v7 offset:17472                           // 000000026420: D86C4440 49000007
	ds_read_b32 v74, v7 offset:17536                           // 000000026428: D86C4480 4A000007
	ds_read_b32 v75, v7 offset:17600                           // 000000026430: D86C44C0 4B000007
	ds_read_b32 v76, v7 offset:17664                           // 000000026438: D86C4500 4C000007
	ds_read_b32 v77, v7 offset:17728                           // 000000026440: D86C4540 4D000007
	ds_read_b32 v78, v7 offset:17792                           // 000000026448: D86C4580 4E000007
	ds_read_b32 v79, v7 offset:17856                           // 000000026450: D86C45C0 4F000007
	v_cvt_f32_i32_e32 v192, v192                               // 000000026458: 7F800BC0
	v_cvt_f32_i32_e32 v193, v193                               // 00000002645C: 7F820BC1
	v_cvt_f32_i32_e32 v194, v194                               // 000000026460: 7F840BC2
	v_cvt_f32_i32_e32 v195, v195                               // 000000026464: 7F860BC3
	v_cvt_f32_i32_e32 v196, v196                               // 000000026468: 7F880BC4
	v_cvt_f32_i32_e32 v197, v197                               // 00000002646C: 7F8A0BC5
	v_cvt_f32_i32_e32 v198, v198                               // 000000026470: 7F8C0BC6
	v_cvt_f32_i32_e32 v199, v199                               // 000000026474: 7F8E0BC7
	v_mul_f32_e32 v192, v46, v192                              // 000000026478: 0B81812E
	v_mul_f32_e32 v193, v46, v193                              // 00000002647C: 0B83832E
	v_mul_f32_e32 v194, v46, v194                              // 000000026480: 0B85852E
	v_mul_f32_e32 v195, v46, v195                              // 000000026484: 0B87872E
	v_mul_f32_e32 v196, v46, v196                              // 000000026488: 0B89892E
	v_mul_f32_e32 v197, v46, v197                              // 00000002648C: 0B8B8B2E
	v_mul_f32_e32 v198, v46, v198                              // 000000026490: 0B8D8D2E
	v_mul_f32_e32 v199, v46, v199                              // 000000026494: 0B8F8F2E
	s_waitcnt lgkmcnt(0)                                       // 000000026498: BF8CC07F
	v_max3_f32 v48, v64, v65, v48                              // 00000002649C: D1D30030 04C28340
	v_max3_f32 v48, v66, v67, v48                              // 0000000264A4: D1D30030 04C28742
	v_max3_f32 v48, v68, v69, v48                              // 0000000264AC: D1D30030 04C28B44
	v_max3_f32 v48, v70, v71, v48                              // 0000000264B4: D1D30030 04C28F46
	v_max3_f32 v48, v72, v73, v48                              // 0000000264BC: D1D30030 04C29348
	v_max3_f32 v48, v74, v75, v48                              // 0000000264C4: D1D30030 04C2974A
	v_max3_f32 v48, v76, v77, v48                              // 0000000264CC: D1D30030 04C29B4C
	v_max3_f32 v48, v78, v79, v48                              // 0000000264D4: D1D30030 04C29F4E
	v_mov_b32_e32 v64, 0xff800000                              // 0000000264DC: 7E8002FF FF800000
	v_cmp_eq_u32_e64 s[40:41], v64, v13                        // 0000000264E4: D0CA0028 00021B40
	s_nop 1                                                    // 0000000264EC: BF800001
	v_max_f32_e32 v15, v48, v13                                // 0000000264F0: 161E1B30
	v_mul_f32_e32 v53, s64, v15                                // 0000000264F4: 0A6A1E40
	v_fma_f32 v144, v144, s64, -v53                            // 0000000264F8: D1CB0090 84D48190
	v_fma_f32 v145, v145, s64, -v53                            // 000000026500: D1CB0091 84D48191
	v_fma_f32 v146, v146, s64, -v53                            // 000000026508: D1CB0092 84D48192
	v_fma_f32 v147, v147, s64, -v53                            // 000000026510: D1CB0093 84D48193
	v_fma_f32 v148, v148, s64, -v53                            // 000000026518: D1CB0094 84D48194
	v_fma_f32 v149, v149, s64, -v53                            // 000000026520: D1CB0095 84D48195
	v_fma_f32 v150, v150, s64, -v53                            // 000000026528: D1CB0096 84D48196
	v_fma_f32 v151, v151, s64, -v53                            // 000000026530: D1CB0097 84D48197
	v_fma_f32 v152, v152, s64, -v53                            // 000000026538: D1CB0098 84D48198
	v_fma_f32 v153, v153, s64, -v53                            // 000000026540: D1CB0099 84D48199
	v_fma_f32 v154, v154, s64, -v53                            // 000000026548: D1CB009A 84D4819A
	v_fma_f32 v155, v155, s64, -v53                            // 000000026550: D1CB009B 84D4819B
	v_fma_f32 v156, v156, s64, -v53                            // 000000026558: D1CB009C 84D4819C
	v_fma_f32 v157, v157, s64, -v53                            // 000000026560: D1CB009D 84D4819D
	v_fma_f32 v158, v158, s64, -v53                            // 000000026568: D1CB009E 84D4819E
	v_fma_f32 v159, v159, s64, -v53                            // 000000026570: D1CB009F 84D4819F
	v_exp_f32_e32 v144, v144                                   // 000000026578: 7F204190
	v_exp_f32_e32 v145, v145                                   // 00000002657C: 7F224191
	v_exp_f32_e32 v146, v146                                   // 000000026580: 7F244192
	v_exp_f32_e32 v147, v147                                   // 000000026584: 7F264193
	v_exp_f32_e32 v148, v148                                   // 000000026588: 7F284194
	v_exp_f32_e32 v149, v149                                   // 00000002658C: 7F2A4195
	v_exp_f32_e32 v150, v150                                   // 000000026590: 7F2C4196
	v_exp_f32_e32 v151, v151                                   // 000000026594: 7F2E4197
	v_exp_f32_e32 v152, v152                                   // 000000026598: 7F304198
	v_exp_f32_e32 v153, v153                                   // 00000002659C: 7F324199
	v_exp_f32_e32 v154, v154                                   // 0000000265A0: 7F34419A
	v_exp_f32_e32 v155, v155                                   // 0000000265A4: 7F36419B
	v_exp_f32_e32 v156, v156                                   // 0000000265A8: 7F38419C
	v_exp_f32_e32 v157, v157                                   // 0000000265AC: 7F3A419D
	v_exp_f32_e32 v158, v158                                   // 0000000265B0: 7F3C419E
	v_exp_f32_e32 v159, v159                                   // 0000000265B4: 7F3E419F
	v_mul_f32_dpp v240, v252, v144 quad_perm:[0,0,0,0] row_mask:0xf bank_mask:0xf// 0000000265B8: 0BE120FA FF0000FC
	v_mul_f32_dpp v241, v252, v145 quad_perm:[1,1,1,1] row_mask:0xf bank_mask:0xf// 0000000265C0: 0BE322FA FF0055FC
	v_mul_f32_dpp v242, v252, v146 quad_perm:[2,2,2,2] row_mask:0xf bank_mask:0xf// 0000000265C8: 0BE524FA FF00AAFC
	v_mul_f32_dpp v243, v252, v147 quad_perm:[3,3,3,3] row_mask:0xf bank_mask:0xf// 0000000265D0: 0BE726FA FF00FFFC
	v_mul_f32_dpp v244, v253, v148 quad_perm:[0,0,0,0] row_mask:0xf bank_mask:0xf// 0000000265D8: 0BE928FA FF0000FD
	v_mul_f32_dpp v245, v253, v149 quad_perm:[1,1,1,1] row_mask:0xf bank_mask:0xf// 0000000265E0: 0BEB2AFA FF0055FD
	v_mul_f32_dpp v246, v253, v150 quad_perm:[2,2,2,2] row_mask:0xf bank_mask:0xf// 0000000265E8: 0BED2CFA FF00AAFD
	v_mul_f32_dpp v247, v253, v151 quad_perm:[3,3,3,3] row_mask:0xf bank_mask:0xf// 0000000265F0: 0BEF2EFA FF00FFFD
	v_mul_f32_dpp v248, v254, v152 quad_perm:[0,0,0,0] row_mask:0xf bank_mask:0xf// 0000000265F8: 0BF130FA FF0000FE
	v_mul_f32_dpp v249, v254, v153 quad_perm:[1,1,1,1] row_mask:0xf bank_mask:0xf// 000000026600: 0BF332FA FF0055FE
	v_mul_f32_dpp v250, v254, v154 quad_perm:[2,2,2,2] row_mask:0xf bank_mask:0xf// 000000026608: 0BF534FA FF00AAFE
	v_mul_f32_dpp v251, v254, v155 quad_perm:[3,3,3,3] row_mask:0xf bank_mask:0xf// 000000026610: 0BF736FA FF00FFFE
	v_mul_f32_dpp v252, v255, v156 quad_perm:[0,0,0,0] row_mask:0xf bank_mask:0xf// 000000026618: 0BF938FA FF0000FF
	v_mul_f32_dpp v253, v255, v157 quad_perm:[1,1,1,1] row_mask:0xf bank_mask:0xf// 000000026620: 0BFB3AFA FF0055FF
	v_mul_f32_dpp v254, v255, v158 quad_perm:[2,2,2,2] row_mask:0xf bank_mask:0xf// 000000026628: 0BFD3CFA FF00AAFF
	v_mul_f32_dpp v255, v255, v159 quad_perm:[3,3,3,3] row_mask:0xf bank_mask:0xf// 000000026630: 0BFF3EFA FF00FFFF
	v_mov_b32_e32 v48, 0x358637bd                              // 000000026638: 7E6002FF 358637BD
	v_max3_f32 v48, |v240|, |v241|, v48                        // 000000026640: D1D30330 04C3E3F0
	v_max3_f32 v48, |v242|, |v243|, v48                        // 000000026648: D1D30330 04C3E7F2
	v_max3_f32 v48, |v244|, |v245|, v48                        // 000000026650: D1D30330 04C3EBF4
	v_max3_f32 v48, |v246|, |v247|, v48                        // 000000026658: D1D30330 04C3EFF6
	v_max3_f32 v48, |v248|, |v249|, v48                        // 000000026660: D1D30330 04C3F3F8
	v_max3_f32 v48, |v250|, |v251|, v48                        // 000000026668: D1D30330 04C3F7FA
	v_max3_f32 v48, |v252|, |v253|, v48                        // 000000026670: D1D30330 04C3FBFC
	v_max3_f32 v48, |v254|, |v255|, v48                        // 000000026678: D1D30330 04C3FFFE
	ds_write_b32 v8, v48 offset:20992                          // 000000026680: D81A5200 00003008
	v_sub_f32_e32 v51, v13, v15                                // 000000026688: 04661F0D
	v_cndmask_b32_e64 v51, v51, 0, s[40:41]                    // 00000002668C: D1000033 00A10133
	v_mov_b32_e32 v13, v15                                     // 000000026694: 7E1A030F
	v_mul_f32_e32 v51, s64, v51                                // 000000026698: 0A666640
	v_exp_f32_e32 v51, v51                                     // 00000002669C: 7E664133
	s_waitcnt lgkmcnt(0)                                       // 0000000266A0: BF8CC07F
	s_barrier                                                  // 0000000266A4: BF8A0000
	ds_read_b32 v64, v7 offset:20992                           // 0000000266A8: D86C5200 40000007
	ds_read_b32 v65, v7 offset:21056                           // 0000000266B0: D86C5240 41000007
	ds_read_b32 v66, v7 offset:21120                           // 0000000266B8: D86C5280 42000007
	ds_read_b32 v67, v7 offset:21184                           // 0000000266C0: D86C52C0 43000007
	ds_read_b32 v68, v7 offset:21248                           // 0000000266C8: D86C5300 44000007
	ds_read_b32 v69, v7 offset:21312                           // 0000000266D0: D86C5340 45000007
	ds_read_b32 v70, v7 offset:21376                           // 0000000266D8: D86C5380 46000007
	ds_read_b32 v71, v7 offset:21440                           // 0000000266E0: D86C53C0 47000007
	ds_read_b32 v72, v7 offset:21504                           // 0000000266E8: D86C5400 48000007
	ds_read_b32 v73, v7 offset:21568                           // 0000000266F0: D86C5440 49000007
	ds_read_b32 v74, v7 offset:21632                           // 0000000266F8: D86C5480 4A000007
	ds_read_b32 v75, v7 offset:21696                           // 000000026700: D86C54C0 4B000007
	ds_read_b32 v76, v7 offset:21760                           // 000000026708: D86C5500 4C000007
	ds_read_b32 v77, v7 offset:21824                           // 000000026710: D86C5540 4D000007
	ds_read_b32 v78, v7 offset:21888                           // 000000026718: D86C5580 4E000007
	ds_read_b32 v79, v7 offset:21952                           // 000000026720: D86C55C0 4F000007
	v_mul_f32_e32 v40, v51, v40                                // 000000026728: 0A505133
	v_mov_b32_e32 v15, v144                                    // 00000002672C: 7E1E0390
	v_add_f32_e32 v15, v145, v15                               // 000000026730: 021E1F91
	v_add_f32_e32 v15, v146, v15                               // 000000026734: 021E1F92
	v_add_f32_e32 v15, v147, v15                               // 000000026738: 021E1F93
	v_add_f32_e32 v15, v148, v15                               // 00000002673C: 021E1F94
	v_add_f32_e32 v15, v149, v15                               // 000000026740: 021E1F95
	v_add_f32_e32 v15, v150, v15                               // 000000026744: 021E1F96
	v_add_f32_e32 v15, v151, v15                               // 000000026748: 021E1F97
	v_add_f32_e32 v15, v152, v15                               // 00000002674C: 021E1F98
	v_add_f32_e32 v15, v153, v15                               // 000000026750: 021E1F99
	v_add_f32_e32 v15, v154, v15                               // 000000026754: 021E1F9A
	v_add_f32_e32 v15, v155, v15                               // 000000026758: 021E1F9B
	v_add_f32_e32 v15, v156, v15                               // 00000002675C: 021E1F9C
	v_add_f32_e32 v15, v157, v15                               // 000000026760: 021E1F9D
	v_add_f32_e32 v15, v158, v15                               // 000000026764: 021E1F9E
	v_add_f32_e32 v15, v159, v15                               // 000000026768: 021E1F9F
	v_add_f32_e32 v40, v15, v40                                // 00000002676C: 0250510F
	s_waitcnt lgkmcnt(0)                                       // 000000026770: BF8CC07F
	v_max3_f32 v48, |v64|, |v65|, v48                          // 000000026774: D1D30330 04C28340
	v_max3_f32 v48, |v66|, |v67|, v48                          // 00000002677C: D1D30330 04C28742
	v_max3_f32 v48, |v68|, |v69|, v48                          // 000000026784: D1D30330 04C28B44
	v_max3_f32 v48, |v70|, |v71|, v48                          // 00000002678C: D1D30330 04C28F46
	v_max3_f32 v48, |v72|, |v73|, v48                          // 000000026794: D1D30330 04C29348
	v_max3_f32 v48, |v74|, |v75|, v48                          // 00000002679C: D1D30330 04C2974A
	v_max3_f32 v48, |v76|, |v77|, v48                          // 0000000267A4: D1D30330 04C29B4C
	v_max3_f32 v48, |v78|, |v79|, v48                          // 0000000267AC: D1D30330 04C29F4E
	s_nop 2                                                    // 0000000267B4: BF800002
	v_rcp_f32_e32 v48, v48                                     // 0000000267B8: 7E604530
	s_nop 1                                                    // 0000000267BC: BF800001
	v_mul_f32_e32 v48, 0x42fe0000, v48                         // 0000000267C0: 0A6060FF 42FE0000
	v_mul_f32_e32 v144, v48, v240                              // 0000000267C8: 0B21E130
	v_mul_f32_e32 v145, v48, v241                              // 0000000267CC: 0B23E330
	v_mul_f32_e32 v146, v48, v242                              // 0000000267D0: 0B25E530
	v_mul_f32_e32 v147, v48, v243                              // 0000000267D4: 0B27E730
	v_mul_f32_e32 v148, v48, v244                              // 0000000267D8: 0B29E930
	v_mul_f32_e32 v149, v48, v245                              // 0000000267DC: 0B2BEB30
	v_mul_f32_e32 v150, v48, v246                              // 0000000267E0: 0B2DED30
	v_mul_f32_e32 v151, v48, v247                              // 0000000267E4: 0B2FEF30
	v_mul_f32_e32 v152, v48, v248                              // 0000000267E8: 0B31F130
	v_mul_f32_e32 v153, v48, v249                              // 0000000267EC: 0B33F330
	v_mul_f32_e32 v154, v48, v250                              // 0000000267F0: 0B35F530
	v_mul_f32_e32 v155, v48, v251                              // 0000000267F4: 0B37F730
	v_mul_f32_e32 v156, v48, v252                              // 0000000267F8: 0B39F930
	v_mul_f32_e32 v157, v48, v253                              // 0000000267FC: 0B3BFB30
	v_mul_f32_e32 v158, v48, v254                              // 000000026800: 0B3DFD30
	v_mul_f32_e32 v159, v48, v255                              // 000000026804: 0B3FFF30
	v_cvt_i32_f32_e32 v144, v144                               // 000000026808: 7F201190
	v_cvt_i32_f32_e32 v145, v145                               // 00000002680C: 7F221191
	v_cvt_i32_f32_e32 v146, v146                               // 000000026810: 7F241192
	v_cvt_i32_f32_e32 v147, v147                               // 000000026814: 7F261193
	v_cvt_i32_f32_e32 v148, v148                               // 000000026818: 7F281194
	v_cvt_i32_f32_e32 v149, v149                               // 00000002681C: 7F2A1195
	v_cvt_i32_f32_e32 v150, v150                               // 000000026820: 7F2C1196
	v_cvt_i32_f32_e32 v151, v151                               // 000000026824: 7F2E1197
	v_cvt_i32_f32_e32 v152, v152                               // 000000026828: 7F301198
	v_cvt_i32_f32_e32 v153, v153                               // 00000002682C: 7F321199
	v_cvt_i32_f32_e32 v154, v154                               // 000000026830: 7F34119A
	v_cvt_i32_f32_e32 v155, v155                               // 000000026834: 7F36119B
	v_cvt_i32_f32_e32 v156, v156                               // 000000026838: 7F38119C
	v_cvt_i32_f32_e32 v157, v157                               // 00000002683C: 7F3A119D
	v_cvt_i32_f32_e32 v158, v158                               // 000000026840: 7F3C119E
	v_cvt_i32_f32_e32 v159, v159                               // 000000026844: 7F3E119F
	v_perm_b32 v144, v145, v144, s53                           // 000000026848: D1ED0090 00D72191
	v_perm_b32 v144, v146, v144, s54                           // 000000026850: D1ED0090 00DB2192
	v_perm_b32 v144, v147, v144, s55                           // 000000026858: D1ED0090 00DF2193
	v_perm_b32 v145, v149, v148, s53                           // 000000026860: D1ED0091 00D72995
	v_perm_b32 v145, v150, v145, s54                           // 000000026868: D1ED0091 00DB2396
	v_perm_b32 v145, v151, v145, s55                           // 000000026870: D1ED0091 00DF2397
	v_perm_b32 v146, v153, v152, s53                           // 000000026878: D1ED0092 00D73199
	v_perm_b32 v146, v154, v146, s54                           // 000000026880: D1ED0092 00DB259A
	v_perm_b32 v146, v155, v146, s55                           // 000000026888: D1ED0092 00DF259B
	v_perm_b32 v147, v157, v156, s53                           // 000000026890: D1ED0093 00D7399D
	v_perm_b32 v147, v158, v147, s54                           // 000000026898: D1ED0093 00DB279E
	v_perm_b32 v147, v159, v147, s55                           // 0000000268A0: D1ED0093 00DF279F
	ds_write_b32 v10, v144 offset:33280                        // 0000000268A8: D81A8200 0000900A
	ds_write_b32 v10, v145 offset:34304                        // 0000000268B0: D81A8600 0000910A
	ds_write_b32 v10, v146 offset:35328                        // 0000000268B8: D81A8A00 0000920A
	ds_write_b32 v10, v147 offset:36352                        // 0000000268C0: D81A8E00 0000930A
	v_add_f32_e32 v224, v224, v192                             // 0000000268C8: 03C181E0
	v_add_f32_e32 v225, v225, v193                             // 0000000268CC: 03C383E1
	v_add_f32_e32 v226, v226, v194                             // 0000000268D0: 03C585E2
	v_add_f32_e32 v227, v227, v195                             // 0000000268D4: 03C787E3
	v_add_f32_e32 v228, v228, v196                             // 0000000268D8: 03C989E4
	v_add_f32_e32 v229, v229, v197                             // 0000000268DC: 03CB8BE5
	v_add_f32_e32 v230, v230, v198                             // 0000000268E0: 03CD8DE6
	v_add_f32_e32 v231, v231, v199                             // 0000000268E4: 03CF8FE7
	v_rcp_f32_e32 v46, v48                                     // 0000000268E8: 7E5C4530
	s_waitcnt lgkmcnt(0)                                       // 0000000268EC: BF8CC07F
	s_barrier                                                  // 0000000268F0: BF8A0000
	ds_read_b64 v[144:145], v9 offset:33280                    // 0000000268F4: D8EC8200 90000009
	ds_read_b64 v[146:147], v9 offset:33408                    // 0000000268FC: D8EC8280 92000009
	ds_read_b64 v[148:149], v9 offset:34304                    // 000000026904: D8EC8600 94000009
	ds_read_b64 v[150:151], v9 offset:34432                    // 00000002690C: D8EC8680 96000009
	ds_read_b64 v[152:153], v9 offset:35328                    // 000000026914: D8EC8A00 98000009
	ds_read_b64 v[154:155], v9 offset:35456                    // 00000002691C: D8EC8A80 9A000009
	ds_read_b64 v[156:157], v9 offset:36352                    // 000000026924: D8EC8E00 9C000009
	ds_read_b64 v[158:159], v9 offset:36480                    // 00000002692C: D8EC8E80 9E000009
	v_mov_b32_dpp v64, v42 row_shr:4 row_mask:0xf bank_mask:0xf// 000000026934: 7E8002FA FF01142A
	v_mov_b32_dpp v65, v42 row_shl:4 row_mask:0xf bank_mask:0xf// 00000002693C: 7E8202FA FF01042A
	v_cndmask_b32_e64 v248, v42, v64, s[44:45]                 // 000000026944: D10000F8 00B2812A
	v_cndmask_b32_e64 v249, v65, v42, s[44:45]                 // 00000002694C: D10000F9 00B25541
	v_mov_b32_dpp v64, v248 row_shr:8 row_mask:0xf bank_mask:0xf// 000000026954: 7E8002FA FF0118F8
	v_mov_b32_dpp v65, v248 row_shl:8 row_mask:0xf bank_mask:0xf// 00000002695C: 7E8202FA FF0108F8
	v_mov_b32_dpp v66, v249 row_shr:8 row_mask:0xf bank_mask:0xf// 000000026964: 7E8402FA FF0118F9
	v_mov_b32_dpp v67, v249 row_shl:8 row_mask:0xf bank_mask:0xf// 00000002696C: 7E8602FA FF0108F9
	v_mov_b32_e32 v68, v248                                    // 000000026974: 7E8803F8
	v_mov_b32_e32 v69, v249                                    // 000000026978: 7E8A03F9
	v_cndmask_b32_e64 v248, v68, v64, s[42:43]                 // 00000002697C: D10000F8 00AA8144
	v_cndmask_b32_e64 v250, v68, v65, s[78:79]                 // 000000026984: D10000FA 013A8344
	v_cndmask_b32_e64 v249, v69, v66, s[42:43]                 // 00000002698C: D10000F9 00AA8545
	v_cndmask_b32_e64 v251, v69, v67, s[78:79]                 // 000000026994: D10000FB 013A8745
	v_mov_b32_dpp v64, v57 row_shr:4 row_mask:0xf bank_mask:0xf// 00000002699C: 7E8002FA FF011439
	v_mov_b32_dpp v65, v57 row_shl:4 row_mask:0xf bank_mask:0xf// 0000000269A4: 7E8202FA FF010439
	v_cndmask_b32_e64 v252, v57, v64, s[44:45]                 // 0000000269AC: D10000FC 00B28139
	v_cndmask_b32_e64 v253, v65, v57, s[44:45]                 // 0000000269B4: D10000FD 00B27341
	v_mov_b32_dpp v64, v252 row_shr:8 row_mask:0xf bank_mask:0xf// 0000000269BC: 7E8002FA FF0118FC
	v_mov_b32_dpp v65, v252 row_shl:8 row_mask:0xf bank_mask:0xf// 0000000269C4: 7E8202FA FF0108FC
	v_mov_b32_dpp v66, v253 row_shr:8 row_mask:0xf bank_mask:0xf// 0000000269CC: 7E8402FA FF0118FD
	v_mov_b32_dpp v67, v253 row_shl:8 row_mask:0xf bank_mask:0xf// 0000000269D4: 7E8602FA FF0108FD
	v_mov_b32_e32 v68, v252                                    // 0000000269DC: 7E8803FC
	v_mov_b32_e32 v69, v253                                    // 0000000269E0: 7E8A03FD
	v_cndmask_b32_e64 v252, v68, v64, s[42:43]                 // 0000000269E4: D10000FC 00AA8144
	v_cndmask_b32_e64 v254, v68, v65, s[78:79]                 // 0000000269EC: D10000FE 013A8344
	v_cndmask_b32_e64 v253, v69, v66, s[42:43]                 // 0000000269F4: D10000FD 00AA8545
	v_cndmask_b32_e64 v255, v69, v67, s[78:79]                 // 0000000269FC: D10000FF 013A8745
	v_cvt_f32_i32_e32 v160, v160                               // 000000026A04: 7F400BA0
	v_cvt_f32_i32_e32 v161, v161                               // 000000026A08: 7F420BA1
	v_cvt_f32_i32_e32 v162, v162                               // 000000026A0C: 7F440BA2
	v_cvt_f32_i32_e32 v163, v163                               // 000000026A10: 7F460BA3
	v_cvt_f32_i32_e32 v164, v164                               // 000000026A14: 7F480BA4
	v_cvt_f32_i32_e32 v165, v165                               // 000000026A18: 7F4A0BA5
	v_cvt_f32_i32_e32 v166, v166                               // 000000026A1C: 7F4C0BA6
	v_cvt_f32_i32_e32 v167, v167                               // 000000026A20: 7F4E0BA7
	v_cvt_f32_i32_e32 v168, v168                               // 000000026A24: 7F500BA8
	v_cvt_f32_i32_e32 v169, v169                               // 000000026A28: 7F520BA9
	v_cvt_f32_i32_e32 v170, v170                               // 000000026A2C: 7F540BAA
	v_cvt_f32_i32_e32 v171, v171                               // 000000026A30: 7F560BAB
	v_cvt_f32_i32_e32 v172, v172                               // 000000026A34: 7F580BAC
	v_cvt_f32_i32_e32 v173, v173                               // 000000026A38: 7F5A0BAD
	v_cvt_f32_i32_e32 v174, v174                               // 000000026A3C: 7F5C0BAE
	v_cvt_f32_i32_e32 v175, v175                               // 000000026A40: 7F5E0BAF
	v_mul_f32_e32 v160, v21, v160                              // 000000026A44: 0B414115
	v_mul_f32_e32 v161, v21, v161                              // 000000026A48: 0B434315
	v_mul_f32_e32 v162, v21, v162                              // 000000026A4C: 0B454515
	v_mul_f32_e32 v163, v21, v163                              // 000000026A50: 0B474715
	v_mul_f32_e32 v164, v21, v164                              // 000000026A54: 0B494915
	v_mul_f32_e32 v165, v21, v165                              // 000000026A58: 0B4B4B15
	v_mul_f32_e32 v166, v21, v166                              // 000000026A5C: 0B4D4D15
	v_mul_f32_e32 v167, v21, v167                              // 000000026A60: 0B4F4F15
	v_mul_f32_e32 v168, v21, v168                              // 000000026A64: 0B515115
	v_mul_f32_e32 v169, v21, v169                              // 000000026A68: 0B535315
	v_mul_f32_e32 v170, v21, v170                              // 000000026A6C: 0B555515
	v_mul_f32_e32 v171, v21, v171                              // 000000026A70: 0B575715
	v_mul_f32_e32 v172, v21, v172                              // 000000026A74: 0B595915
	v_mul_f32_e32 v173, v21, v173                              // 000000026A78: 0B5B5B15
	v_mul_f32_e32 v174, v21, v174                              // 000000026A7C: 0B5D5D15
	v_mul_f32_e32 v175, v21, v175                              // 000000026A80: 0B5F5F15
	v_mul_f32_dpp v160, v248, v160 quad_perm:[0,0,0,0] row_mask:0xf bank_mask:0xf// 000000026A84: 0B4140FA FF0000F8
	v_mul_f32_dpp v161, v248, v161 quad_perm:[1,1,1,1] row_mask:0xf bank_mask:0xf// 000000026A8C: 0B4342FA FF0055F8
	v_mul_f32_dpp v162, v248, v162 quad_perm:[2,2,2,2] row_mask:0xf bank_mask:0xf// 000000026A94: 0B4544FA FF00AAF8
	v_mul_f32_dpp v163, v248, v163 quad_perm:[3,3,3,3] row_mask:0xf bank_mask:0xf// 000000026A9C: 0B4746FA FF00FFF8
	v_mul_f32_dpp v164, v249, v164 quad_perm:[0,0,0,0] row_mask:0xf bank_mask:0xf// 000000026AA4: 0B4948FA FF0000F9
	v_mul_f32_dpp v165, v249, v165 quad_perm:[1,1,1,1] row_mask:0xf bank_mask:0xf// 000000026AAC: 0B4B4AFA FF0055F9
	v_mul_f32_dpp v166, v249, v166 quad_perm:[2,2,2,2] row_mask:0xf bank_mask:0xf// 000000026AB4: 0B4D4CFA FF00AAF9
	v_mul_f32_dpp v167, v249, v167 quad_perm:[3,3,3,3] row_mask:0xf bank_mask:0xf// 000000026ABC: 0B4F4EFA FF00FFF9
	v_mul_f32_dpp v168, v250, v168 quad_perm:[0,0,0,0] row_mask:0xf bank_mask:0xf// 000000026AC4: 0B5150FA FF0000FA
	v_mul_f32_dpp v169, v250, v169 quad_perm:[1,1,1,1] row_mask:0xf bank_mask:0xf// 000000026ACC: 0B5352FA FF0055FA
	v_mul_f32_dpp v170, v250, v170 quad_perm:[2,2,2,2] row_mask:0xf bank_mask:0xf// 000000026AD4: 0B5554FA FF00AAFA
	v_mul_f32_dpp v171, v250, v171 quad_perm:[3,3,3,3] row_mask:0xf bank_mask:0xf// 000000026ADC: 0B5756FA FF00FFFA
	v_mul_f32_dpp v172, v251, v172 quad_perm:[0,0,0,0] row_mask:0xf bank_mask:0xf// 000000026AE4: 0B5958FA FF0000FB
	v_mul_f32_dpp v173, v251, v173 quad_perm:[1,1,1,1] row_mask:0xf bank_mask:0xf// 000000026AEC: 0B5B5AFA FF0055FB
	v_mul_f32_dpp v174, v251, v174 quad_perm:[2,2,2,2] row_mask:0xf bank_mask:0xf// 000000026AF4: 0B5D5CFA FF00AAFB
	v_mul_f32_dpp v175, v251, v175 quad_perm:[3,3,3,3] row_mask:0xf bank_mask:0xf// 000000026AFC: 0B5F5EFA FF00FFFB
	s_and_b32 s60, s72, 0xff                                   // 000000026B04: 863CFF48 000000FF
	v_mov_b32_e32 v65, s60                                     // 000000026B0C: 7E82023C
	v_lshrrev_b32_e32 v240, 4, v0                              // 000000026B10: 21E00084
	v_mul_i32_i24_e32 v240, 4, v240                            // 000000026B14: 0DE1E084
	s_mul_i32 s60, s7, 16                                      // 000000026B18: 923C9007
	v_add_u32_e32 v240, s60, v240                              // 000000026B1C: 69E1E03C
	v_add_u32_e32 v241, 1, v240                                // 000000026B20: 69E3E081
	v_add_u32_e32 v242, 2, v240                                // 000000026B24: 69E5E082
	v_add_u32_e32 v243, 3, v240                                // 000000026B28: 69E7E083
	v_mov_b32_e32 v64, 0xff800000                              // 000000026B2C: 7E8002FF FF800000
	v_cmp_lt_u32_e64 s[40:41], v240, v65                       // 000000026B34: D0C90028 000283F0
	v_add_u32_e32 v240, 64, v240                               // 000000026B3C: 69E1E0C0
	s_nop 0                                                    // 000000026B40: BF800000
	v_cndmask_b32_e64 v160, v64, v160, s[40:41]                // 000000026B44: D10000A0 00A34140
	v_cmp_lt_u32_e64 s[40:41], v241, v65                       // 000000026B4C: D0C90028 000283F1
	v_add_u32_e32 v241, 64, v241                               // 000000026B54: 69E3E2C0
	s_nop 0                                                    // 000000026B58: BF800000
	v_cndmask_b32_e64 v161, v64, v161, s[40:41]                // 000000026B5C: D10000A1 00A34340
	v_cmp_lt_u32_e64 s[40:41], v242, v65                       // 000000026B64: D0C90028 000283F2
	v_add_u32_e32 v242, 64, v242                               // 000000026B6C: 69E5E4C0
	s_nop 0                                                    // 000000026B70: BF800000
	v_cndmask_b32_e64 v162, v64, v162, s[40:41]                // 000000026B74: D10000A2 00A34540
	v_cmp_lt_u32_e64 s[40:41], v243, v65                       // 000000026B7C: D0C90028 000283F3
	v_add_u32_e32 v243, 64, v243                               // 000000026B84: 69E7E6C0
	s_nop 0                                                    // 000000026B88: BF800000
	v_cndmask_b32_e64 v163, v64, v163, s[40:41]                // 000000026B8C: D10000A3 00A34740
	v_cmp_lt_u32_e64 s[40:41], v240, v65                       // 000000026B94: D0C90028 000283F0
	v_add_u32_e32 v240, 64, v240                               // 000000026B9C: 69E1E0C0
	s_nop 0                                                    // 000000026BA0: BF800000
	v_cndmask_b32_e64 v164, v64, v164, s[40:41]                // 000000026BA4: D10000A4 00A34940
	v_cmp_lt_u32_e64 s[40:41], v241, v65                       // 000000026BAC: D0C90028 000283F1
	v_add_u32_e32 v241, 64, v241                               // 000000026BB4: 69E3E2C0
	s_nop 0                                                    // 000000026BB8: BF800000
	v_cndmask_b32_e64 v165, v64, v165, s[40:41]                // 000000026BBC: D10000A5 00A34B40
	v_cmp_lt_u32_e64 s[40:41], v242, v65                       // 000000026BC4: D0C90028 000283F2
	v_add_u32_e32 v242, 64, v242                               // 000000026BCC: 69E5E4C0
	s_nop 0                                                    // 000000026BD0: BF800000
	v_cndmask_b32_e64 v166, v64, v166, s[40:41]                // 000000026BD4: D10000A6 00A34D40
	v_cmp_lt_u32_e64 s[40:41], v243, v65                       // 000000026BDC: D0C90028 000283F3
	v_add_u32_e32 v243, 64, v243                               // 000000026BE4: 69E7E6C0
	s_nop 0                                                    // 000000026BE8: BF800000
	v_cndmask_b32_e64 v167, v64, v167, s[40:41]                // 000000026BEC: D10000A7 00A34F40
	v_cmp_lt_u32_e64 s[40:41], v240, v65                       // 000000026BF4: D0C90028 000283F0
	v_add_u32_e32 v240, 64, v240                               // 000000026BFC: 69E1E0C0
	s_nop 0                                                    // 000000026C00: BF800000
	v_cndmask_b32_e64 v168, v64, v168, s[40:41]                // 000000026C04: D10000A8 00A35140
	v_cmp_lt_u32_e64 s[40:41], v241, v65                       // 000000026C0C: D0C90028 000283F1
	v_add_u32_e32 v241, 64, v241                               // 000000026C14: 69E3E2C0
	s_nop 0                                                    // 000000026C18: BF800000
	v_cndmask_b32_e64 v169, v64, v169, s[40:41]                // 000000026C1C: D10000A9 00A35340
	v_cmp_lt_u32_e64 s[40:41], v242, v65                       // 000000026C24: D0C90028 000283F2
	v_add_u32_e32 v242, 64, v242                               // 000000026C2C: 69E5E4C0
	s_nop 0                                                    // 000000026C30: BF800000
	v_cndmask_b32_e64 v170, v64, v170, s[40:41]                // 000000026C34: D10000AA 00A35540
	v_cmp_lt_u32_e64 s[40:41], v243, v65                       // 000000026C3C: D0C90028 000283F3
	v_add_u32_e32 v243, 64, v243                               // 000000026C44: 69E7E6C0
	s_nop 0                                                    // 000000026C48: BF800000
	v_cndmask_b32_e64 v171, v64, v171, s[40:41]                // 000000026C4C: D10000AB 00A35740
	v_cmp_lt_u32_e64 s[40:41], v240, v65                       // 000000026C54: D0C90028 000283F0
	v_add_u32_e32 v240, 64, v240                               // 000000026C5C: 69E1E0C0
	s_nop 0                                                    // 000000026C60: BF800000
	v_cndmask_b32_e64 v172, v64, v172, s[40:41]                // 000000026C64: D10000AC 00A35940
	v_cmp_lt_u32_e64 s[40:41], v241, v65                       // 000000026C6C: D0C90028 000283F1
	v_add_u32_e32 v241, 64, v241                               // 000000026C74: 69E3E2C0
	s_nop 0                                                    // 000000026C78: BF800000
	v_cndmask_b32_e64 v173, v64, v173, s[40:41]                // 000000026C7C: D10000AD 00A35B40
	v_cmp_lt_u32_e64 s[40:41], v242, v65                       // 000000026C84: D0C90028 000283F2
	v_add_u32_e32 v242, 64, v242                               // 000000026C8C: 69E5E4C0
	s_nop 0                                                    // 000000026C90: BF800000
	v_cndmask_b32_e64 v174, v64, v174, s[40:41]                // 000000026C94: D10000AE 00A35D40
	v_cmp_lt_u32_e64 s[40:41], v243, v65                       // 000000026C9C: D0C90028 000283F3
	v_add_u32_e32 v243, 64, v243                               // 000000026CA4: 69E7E6C0
	s_nop 0                                                    // 000000026CA8: BF800000
	v_cndmask_b32_e64 v175, v64, v175, s[40:41]                // 000000026CAC: D10000AF 00A35F40
	v_mov_b32_e32 v48, v160                                    // 000000026CB4: 7E6003A0
	v_max3_f32 v48, v160, v161, v48                            // 000000026CB8: D1D30030 04C343A0
	v_max3_f32 v48, v162, v163, v48                            // 000000026CC0: D1D30030 04C347A2
	v_max3_f32 v48, v164, v165, v48                            // 000000026CC8: D1D30030 04C34BA4
	v_max3_f32 v48, v166, v167, v48                            // 000000026CD0: D1D30030 04C34FA6
	v_max3_f32 v48, v168, v169, v48                            // 000000026CD8: D1D30030 04C353A8
	v_max3_f32 v48, v170, v171, v48                            // 000000026CE0: D1D30030 04C357AA
	v_max3_f32 v48, v172, v173, v48                            // 000000026CE8: D1D30030 04C35BAC
	v_max3_f32 v48, v174, v175, v48                            // 000000026CF0: D1D30030 04C35FAE
	ds_write_b32 v8, v48 offset:16896                          // 000000026CF8: D81A4200 00003008
	v_mul_f32_e32 v232, v52, v232                              // 000000026D00: 0BD1D134
	v_mul_f32_e32 v233, v52, v233                              // 000000026D04: 0BD3D334
	v_mul_f32_e32 v234, v52, v234                              // 000000026D08: 0BD5D534
	v_mul_f32_e32 v235, v52, v235                              // 000000026D0C: 0BD7D734
	v_mul_f32_e32 v236, v52, v236                              // 000000026D10: 0BD9D934
	v_mul_f32_e32 v237, v52, v237                              // 000000026D14: 0BDBDB34
	v_mul_f32_e32 v238, v52, v238                              // 000000026D18: 0BDDDD34
	v_mul_f32_e32 v239, v52, v239                              // 000000026D1C: 0BDFDF34
	s_waitcnt lgkmcnt(0)                                       // 000000026D20: BF8CC07F
	s_barrier                                                  // 000000026D24: BF8A0000
	ds_read_b32 v64, v7 offset:16896                           // 000000026D28: D86C4200 40000007
	ds_read_b32 v65, v7 offset:16960                           // 000000026D30: D86C4240 41000007
	ds_read_b32 v66, v7 offset:17024                           // 000000026D38: D86C4280 42000007
	ds_read_b32 v67, v7 offset:17088                           // 000000026D40: D86C42C0 43000007
	ds_read_b32 v68, v7 offset:17152                           // 000000026D48: D86C4300 44000007
	ds_read_b32 v69, v7 offset:17216                           // 000000026D50: D86C4340 45000007
	ds_read_b32 v70, v7 offset:17280                           // 000000026D58: D86C4380 46000007
	ds_read_b32 v71, v7 offset:17344                           // 000000026D60: D86C43C0 47000007
	ds_read_b32 v72, v7 offset:17408                           // 000000026D68: D86C4400 48000007
	ds_read_b32 v73, v7 offset:17472                           // 000000026D70: D86C4440 49000007
	ds_read_b32 v74, v7 offset:17536                           // 000000026D78: D86C4480 4A000007
	ds_read_b32 v75, v7 offset:17600                           // 000000026D80: D86C44C0 4B000007
	ds_read_b32 v76, v7 offset:17664                           // 000000026D88: D86C4500 4C000007
	ds_read_b32 v77, v7 offset:17728                           // 000000026D90: D86C4540 4D000007
	ds_read_b32 v78, v7 offset:17792                           // 000000026D98: D86C4580 4E000007
	ds_read_b32 v79, v7 offset:17856                           // 000000026DA0: D86C45C0 4F000007
	v_cvt_f32_i32_e32 v200, v200                               // 000000026DA8: 7F900BC8
	v_cvt_f32_i32_e32 v201, v201                               // 000000026DAC: 7F920BC9
	v_cvt_f32_i32_e32 v202, v202                               // 000000026DB0: 7F940BCA
	v_cvt_f32_i32_e32 v203, v203                               // 000000026DB4: 7F960BCB
	v_cvt_f32_i32_e32 v204, v204                               // 000000026DB8: 7F980BCC
	v_cvt_f32_i32_e32 v205, v205                               // 000000026DBC: 7F9A0BCD
	v_cvt_f32_i32_e32 v206, v206                               // 000000026DC0: 7F9C0BCE
	v_cvt_f32_i32_e32 v207, v207                               // 000000026DC4: 7F9E0BCF
	v_mul_f32_e32 v200, v47, v200                              // 000000026DC8: 0B91912F
	v_mul_f32_e32 v201, v47, v201                              // 000000026DCC: 0B93932F
	v_mul_f32_e32 v202, v47, v202                              // 000000026DD0: 0B95952F
	v_mul_f32_e32 v203, v47, v203                              // 000000026DD4: 0B97972F
	v_mul_f32_e32 v204, v47, v204                              // 000000026DD8: 0B99992F
	v_mul_f32_e32 v205, v47, v205                              // 000000026DDC: 0B9B9B2F
	v_mul_f32_e32 v206, v47, v206                              // 000000026DE0: 0B9D9D2F
	v_mul_f32_e32 v207, v47, v207                              // 000000026DE4: 0B9F9F2F
	s_waitcnt lgkmcnt(0)                                       // 000000026DE8: BF8CC07F
	v_max3_f32 v48, v64, v65, v48                              // 000000026DEC: D1D30030 04C28340
	v_max3_f32 v48, v66, v67, v48                              // 000000026DF4: D1D30030 04C28742
	v_max3_f32 v48, v68, v69, v48                              // 000000026DFC: D1D30030 04C28B44
	v_max3_f32 v48, v70, v71, v48                              // 000000026E04: D1D30030 04C28F46
	v_max3_f32 v48, v72, v73, v48                              // 000000026E0C: D1D30030 04C29348
	v_max3_f32 v48, v74, v75, v48                              // 000000026E14: D1D30030 04C2974A
	v_max3_f32 v48, v76, v77, v48                              // 000000026E1C: D1D30030 04C29B4C
	v_max3_f32 v48, v78, v79, v48                              // 000000026E24: D1D30030 04C29F4E
	v_mov_b32_e32 v64, 0xff800000                              // 000000026E2C: 7E8002FF FF800000
	v_cmp_eq_u32_e64 s[40:41], v64, v14                        // 000000026E34: D0CA0028 00021D40
	s_nop 1                                                    // 000000026E3C: BF800001
	v_max_f32_e32 v15, v48, v14                                // 000000026E40: 161E1D30
	v_mul_f32_e32 v53, s64, v15                                // 000000026E44: 0A6A1E40
	v_fma_f32 v160, v160, s64, -v53                            // 000000026E48: D1CB00A0 84D481A0
	v_fma_f32 v161, v161, s64, -v53                            // 000000026E50: D1CB00A1 84D481A1
	v_fma_f32 v162, v162, s64, -v53                            // 000000026E58: D1CB00A2 84D481A2
	v_fma_f32 v163, v163, s64, -v53                            // 000000026E60: D1CB00A3 84D481A3
	v_fma_f32 v164, v164, s64, -v53                            // 000000026E68: D1CB00A4 84D481A4
	v_fma_f32 v165, v165, s64, -v53                            // 000000026E70: D1CB00A5 84D481A5
	v_fma_f32 v166, v166, s64, -v53                            // 000000026E78: D1CB00A6 84D481A6
	v_fma_f32 v167, v167, s64, -v53                            // 000000026E80: D1CB00A7 84D481A7
	v_fma_f32 v168, v168, s64, -v53                            // 000000026E88: D1CB00A8 84D481A8
	v_fma_f32 v169, v169, s64, -v53                            // 000000026E90: D1CB00A9 84D481A9
	v_fma_f32 v170, v170, s64, -v53                            // 000000026E98: D1CB00AA 84D481AA
	v_fma_f32 v171, v171, s64, -v53                            // 000000026EA0: D1CB00AB 84D481AB
	v_fma_f32 v172, v172, s64, -v53                            // 000000026EA8: D1CB00AC 84D481AC
	v_fma_f32 v173, v173, s64, -v53                            // 000000026EB0: D1CB00AD 84D481AD
	v_fma_f32 v174, v174, s64, -v53                            // 000000026EB8: D1CB00AE 84D481AE
	v_fma_f32 v175, v175, s64, -v53                            // 000000026EC0: D1CB00AF 84D481AF
	v_exp_f32_e32 v160, v160                                   // 000000026EC8: 7F4041A0
	v_exp_f32_e32 v161, v161                                   // 000000026ECC: 7F4241A1
	v_exp_f32_e32 v162, v162                                   // 000000026ED0: 7F4441A2
	v_exp_f32_e32 v163, v163                                   // 000000026ED4: 7F4641A3
	v_exp_f32_e32 v164, v164                                   // 000000026ED8: 7F4841A4
	v_exp_f32_e32 v165, v165                                   // 000000026EDC: 7F4A41A5
	v_exp_f32_e32 v166, v166                                   // 000000026EE0: 7F4C41A6
	v_exp_f32_e32 v167, v167                                   // 000000026EE4: 7F4E41A7
	v_exp_f32_e32 v168, v168                                   // 000000026EE8: 7F5041A8
	v_exp_f32_e32 v169, v169                                   // 000000026EEC: 7F5241A9
	v_exp_f32_e32 v170, v170                                   // 000000026EF0: 7F5441AA
	v_exp_f32_e32 v171, v171                                   // 000000026EF4: 7F5641AB
	v_exp_f32_e32 v172, v172                                   // 000000026EF8: 7F5841AC
	v_exp_f32_e32 v173, v173                                   // 000000026EFC: 7F5A41AD
	v_exp_f32_e32 v174, v174                                   // 000000026F00: 7F5C41AE
	v_exp_f32_e32 v175, v175                                   // 000000026F04: 7F5E41AF
	v_mul_f32_dpp v240, v252, v160 quad_perm:[0,0,0,0] row_mask:0xf bank_mask:0xf// 000000026F08: 0BE140FA FF0000FC
	v_mul_f32_dpp v241, v252, v161 quad_perm:[1,1,1,1] row_mask:0xf bank_mask:0xf// 000000026F10: 0BE342FA FF0055FC
	v_mul_f32_dpp v242, v252, v162 quad_perm:[2,2,2,2] row_mask:0xf bank_mask:0xf// 000000026F18: 0BE544FA FF00AAFC
	v_mul_f32_dpp v243, v252, v163 quad_perm:[3,3,3,3] row_mask:0xf bank_mask:0xf// 000000026F20: 0BE746FA FF00FFFC
	v_mul_f32_dpp v244, v253, v164 quad_perm:[0,0,0,0] row_mask:0xf bank_mask:0xf// 000000026F28: 0BE948FA FF0000FD
	v_mul_f32_dpp v245, v253, v165 quad_perm:[1,1,1,1] row_mask:0xf bank_mask:0xf// 000000026F30: 0BEB4AFA FF0055FD
	v_mul_f32_dpp v246, v253, v166 quad_perm:[2,2,2,2] row_mask:0xf bank_mask:0xf// 000000026F38: 0BED4CFA FF00AAFD
	v_mul_f32_dpp v247, v253, v167 quad_perm:[3,3,3,3] row_mask:0xf bank_mask:0xf// 000000026F40: 0BEF4EFA FF00FFFD
	v_mul_f32_dpp v248, v254, v168 quad_perm:[0,0,0,0] row_mask:0xf bank_mask:0xf// 000000026F48: 0BF150FA FF0000FE
	v_mul_f32_dpp v249, v254, v169 quad_perm:[1,1,1,1] row_mask:0xf bank_mask:0xf// 000000026F50: 0BF352FA FF0055FE
	v_mul_f32_dpp v250, v254, v170 quad_perm:[2,2,2,2] row_mask:0xf bank_mask:0xf// 000000026F58: 0BF554FA FF00AAFE
	v_mul_f32_dpp v251, v254, v171 quad_perm:[3,3,3,3] row_mask:0xf bank_mask:0xf// 000000026F60: 0BF756FA FF00FFFE
	v_mul_f32_dpp v252, v255, v172 quad_perm:[0,0,0,0] row_mask:0xf bank_mask:0xf// 000000026F68: 0BF958FA FF0000FF
	v_mul_f32_dpp v253, v255, v173 quad_perm:[1,1,1,1] row_mask:0xf bank_mask:0xf// 000000026F70: 0BFB5AFA FF0055FF
	v_mul_f32_dpp v254, v255, v174 quad_perm:[2,2,2,2] row_mask:0xf bank_mask:0xf// 000000026F78: 0BFD5CFA FF00AAFF
	v_mul_f32_dpp v255, v255, v175 quad_perm:[3,3,3,3] row_mask:0xf bank_mask:0xf// 000000026F80: 0BFF5EFA FF00FFFF
	v_mov_b32_e32 v48, 0x358637bd                              // 000000026F88: 7E6002FF 358637BD
	v_max3_f32 v48, |v240|, |v241|, v48                        // 000000026F90: D1D30330 04C3E3F0
	v_max3_f32 v48, |v242|, |v243|, v48                        // 000000026F98: D1D30330 04C3E7F2
	v_max3_f32 v48, |v244|, |v245|, v48                        // 000000026FA0: D1D30330 04C3EBF4
	v_max3_f32 v48, |v246|, |v247|, v48                        // 000000026FA8: D1D30330 04C3EFF6
	v_max3_f32 v48, |v248|, |v249|, v48                        // 000000026FB0: D1D30330 04C3F3F8
	v_max3_f32 v48, |v250|, |v251|, v48                        // 000000026FB8: D1D30330 04C3F7FA
	v_max3_f32 v48, |v252|, |v253|, v48                        // 000000026FC0: D1D30330 04C3FBFC
	v_max3_f32 v48, |v254|, |v255|, v48                        // 000000026FC8: D1D30330 04C3FFFE
	ds_write_b32 v8, v48 offset:20992                          // 000000026FD0: D81A5200 00003008
	v_sub_f32_e32 v52, v14, v15                                // 000000026FD8: 04681F0E
	v_cndmask_b32_e64 v52, v52, 0, s[40:41]                    // 000000026FDC: D1000034 00A10134
	v_mov_b32_e32 v14, v15                                     // 000000026FE4: 7E1C030F
	v_mul_f32_e32 v52, s64, v52                                // 000000026FE8: 0A686840
	v_exp_f32_e32 v52, v52                                     // 000000026FEC: 7E684134
	s_waitcnt lgkmcnt(0)                                       // 000000026FF0: BF8CC07F
	s_barrier                                                  // 000000026FF4: BF8A0000
	ds_read_b32 v64, v7 offset:20992                           // 000000026FF8: D86C5200 40000007
	ds_read_b32 v65, v7 offset:21056                           // 000000027000: D86C5240 41000007
	ds_read_b32 v66, v7 offset:21120                           // 000000027008: D86C5280 42000007
	ds_read_b32 v67, v7 offset:21184                           // 000000027010: D86C52C0 43000007
	ds_read_b32 v68, v7 offset:21248                           // 000000027018: D86C5300 44000007
	ds_read_b32 v69, v7 offset:21312                           // 000000027020: D86C5340 45000007
	ds_read_b32 v70, v7 offset:21376                           // 000000027028: D86C5380 46000007
	ds_read_b32 v71, v7 offset:21440                           // 000000027030: D86C53C0 47000007
	ds_read_b32 v72, v7 offset:21504                           // 000000027038: D86C5400 48000007
	ds_read_b32 v73, v7 offset:21568                           // 000000027040: D86C5440 49000007
	ds_read_b32 v74, v7 offset:21632                           // 000000027048: D86C5480 4A000007
	ds_read_b32 v75, v7 offset:21696                           // 000000027050: D86C54C0 4B000007
	ds_read_b32 v76, v7 offset:21760                           // 000000027058: D86C5500 4C000007
	ds_read_b32 v77, v7 offset:21824                           // 000000027060: D86C5540 4D000007
	ds_read_b32 v78, v7 offset:21888                           // 000000027068: D86C5580 4E000007
	ds_read_b32 v79, v7 offset:21952                           // 000000027070: D86C55C0 4F000007
	v_mul_f32_e32 v41, v52, v41                                // 000000027078: 0A525334
	v_mov_b32_e32 v15, v160                                    // 00000002707C: 7E1E03A0
	v_add_f32_e32 v15, v161, v15                               // 000000027080: 021E1FA1
	v_add_f32_e32 v15, v162, v15                               // 000000027084: 021E1FA2
	v_add_f32_e32 v15, v163, v15                               // 000000027088: 021E1FA3
	v_add_f32_e32 v15, v164, v15                               // 00000002708C: 021E1FA4
	v_add_f32_e32 v15, v165, v15                               // 000000027090: 021E1FA5
	v_add_f32_e32 v15, v166, v15                               // 000000027094: 021E1FA6
	v_add_f32_e32 v15, v167, v15                               // 000000027098: 021E1FA7
	v_add_f32_e32 v15, v168, v15                               // 00000002709C: 021E1FA8
	v_add_f32_e32 v15, v169, v15                               // 0000000270A0: 021E1FA9
	v_add_f32_e32 v15, v170, v15                               // 0000000270A4: 021E1FAA
	v_add_f32_e32 v15, v171, v15                               // 0000000270A8: 021E1FAB
	v_add_f32_e32 v15, v172, v15                               // 0000000270AC: 021E1FAC
	v_add_f32_e32 v15, v173, v15                               // 0000000270B0: 021E1FAD
	v_add_f32_e32 v15, v174, v15                               // 0000000270B4: 021E1FAE
	v_add_f32_e32 v15, v175, v15                               // 0000000270B8: 021E1FAF
	v_add_f32_e32 v41, v15, v41                                // 0000000270BC: 0252530F
	s_waitcnt lgkmcnt(0)                                       // 0000000270C0: BF8CC07F
	v_max3_f32 v48, |v64|, |v65|, v48                          // 0000000270C4: D1D30330 04C28340
	v_max3_f32 v48, |v66|, |v67|, v48                          // 0000000270CC: D1D30330 04C28742
	v_max3_f32 v48, |v68|, |v69|, v48                          // 0000000270D4: D1D30330 04C28B44
	v_max3_f32 v48, |v70|, |v71|, v48                          // 0000000270DC: D1D30330 04C28F46
	v_max3_f32 v48, |v72|, |v73|, v48                          // 0000000270E4: D1D30330 04C29348
	v_max3_f32 v48, |v74|, |v75|, v48                          // 0000000270EC: D1D30330 04C2974A
	v_max3_f32 v48, |v76|, |v77|, v48                          // 0000000270F4: D1D30330 04C29B4C
	v_max3_f32 v48, |v78|, |v79|, v48                          // 0000000270FC: D1D30330 04C29F4E
	s_nop 2                                                    // 000000027104: BF800002
	v_rcp_f32_e32 v48, v48                                     // 000000027108: 7E604530
	s_nop 1                                                    // 00000002710C: BF800001
	v_mul_f32_e32 v48, 0x42fe0000, v48                         // 000000027110: 0A6060FF 42FE0000
	v_mul_f32_e32 v160, v48, v240                              // 000000027118: 0B41E130
	v_mul_f32_e32 v161, v48, v241                              // 00000002711C: 0B43E330
	v_mul_f32_e32 v162, v48, v242                              // 000000027120: 0B45E530
	v_mul_f32_e32 v163, v48, v243                              // 000000027124: 0B47E730
	v_mul_f32_e32 v164, v48, v244                              // 000000027128: 0B49E930
	v_mul_f32_e32 v165, v48, v245                              // 00000002712C: 0B4BEB30
	v_mul_f32_e32 v166, v48, v246                              // 000000027130: 0B4DED30
	v_mul_f32_e32 v167, v48, v247                              // 000000027134: 0B4FEF30
	v_mul_f32_e32 v168, v48, v248                              // 000000027138: 0B51F130
	v_mul_f32_e32 v169, v48, v249                              // 00000002713C: 0B53F330
	v_mul_f32_e32 v170, v48, v250                              // 000000027140: 0B55F530
	v_mul_f32_e32 v171, v48, v251                              // 000000027144: 0B57F730
	v_mul_f32_e32 v172, v48, v252                              // 000000027148: 0B59F930
	v_mul_f32_e32 v173, v48, v253                              // 00000002714C: 0B5BFB30
	v_mul_f32_e32 v174, v48, v254                              // 000000027150: 0B5DFD30
	v_mul_f32_e32 v175, v48, v255                              // 000000027154: 0B5FFF30
	v_cvt_i32_f32_e32 v160, v160                               // 000000027158: 7F4011A0
	v_cvt_i32_f32_e32 v161, v161                               // 00000002715C: 7F4211A1
	v_cvt_i32_f32_e32 v162, v162                               // 000000027160: 7F4411A2
	v_cvt_i32_f32_e32 v163, v163                               // 000000027164: 7F4611A3
	v_cvt_i32_f32_e32 v164, v164                               // 000000027168: 7F4811A4
	v_cvt_i32_f32_e32 v165, v165                               // 00000002716C: 7F4A11A5
	v_cvt_i32_f32_e32 v166, v166                               // 000000027170: 7F4C11A6
	v_cvt_i32_f32_e32 v167, v167                               // 000000027174: 7F4E11A7
	v_cvt_i32_f32_e32 v168, v168                               // 000000027178: 7F5011A8
	v_cvt_i32_f32_e32 v169, v169                               // 00000002717C: 7F5211A9
	v_cvt_i32_f32_e32 v170, v170                               // 000000027180: 7F5411AA
	v_cvt_i32_f32_e32 v171, v171                               // 000000027184: 7F5611AB
	v_cvt_i32_f32_e32 v172, v172                               // 000000027188: 7F5811AC
	v_cvt_i32_f32_e32 v173, v173                               // 00000002718C: 7F5A11AD
	v_cvt_i32_f32_e32 v174, v174                               // 000000027190: 7F5C11AE
	v_cvt_i32_f32_e32 v175, v175                               // 000000027194: 7F5E11AF
	v_perm_b32 v160, v161, v160, s53                           // 000000027198: D1ED00A0 00D741A1
	v_perm_b32 v160, v162, v160, s54                           // 0000000271A0: D1ED00A0 00DB41A2
	v_perm_b32 v160, v163, v160, s55                           // 0000000271A8: D1ED00A0 00DF41A3
	v_perm_b32 v161, v165, v164, s53                           // 0000000271B0: D1ED00A1 00D749A5
	v_perm_b32 v161, v166, v161, s54                           // 0000000271B8: D1ED00A1 00DB43A6
	v_perm_b32 v161, v167, v161, s55                           // 0000000271C0: D1ED00A1 00DF43A7
	v_perm_b32 v162, v169, v168, s53                           // 0000000271C8: D1ED00A2 00D751A9
	v_perm_b32 v162, v170, v162, s54                           // 0000000271D0: D1ED00A2 00DB45AA
	v_perm_b32 v162, v171, v162, s55                           // 0000000271D8: D1ED00A2 00DF45AB
	v_perm_b32 v163, v173, v172, s53                           // 0000000271E0: D1ED00A3 00D759AD
	v_perm_b32 v163, v174, v163, s54                           // 0000000271E8: D1ED00A3 00DB47AE
	v_perm_b32 v163, v175, v163, s55                           // 0000000271F0: D1ED00A3 00DF47AF
	ds_write_b32 v10, v160 offset:37376                        // 0000000271F8: D81A9200 0000A00A
	ds_write_b32 v10, v161 offset:38400                        // 000000027200: D81A9600 0000A10A
	ds_write_b32 v10, v162 offset:39424                        // 000000027208: D81A9A00 0000A20A
	ds_write_b32 v10, v163 offset:40448                        // 000000027210: D81A9E00 0000A30A
	v_add_f32_e32 v232, v232, v200                             // 000000027218: 03D191E8
	v_add_f32_e32 v233, v233, v201                             // 00000002721C: 03D393E9
	v_add_f32_e32 v234, v234, v202                             // 000000027220: 03D595EA
	v_add_f32_e32 v235, v235, v203                             // 000000027224: 03D797EB
	v_add_f32_e32 v236, v236, v204                             // 000000027228: 03D999EC
	v_add_f32_e32 v237, v237, v205                             // 00000002722C: 03DB9BED
	v_add_f32_e32 v238, v238, v206                             // 000000027230: 03DD9DEE
	v_add_f32_e32 v239, v239, v207                             // 000000027234: 03DF9FEF
	v_rcp_f32_e32 v47, v48                                     // 000000027238: 7E5E4530
	s_waitcnt lgkmcnt(0)                                       // 00000002723C: BF8CC07F
	s_barrier                                                  // 000000027240: BF8A0000
	ds_read_b64 v[160:161], v9 offset:37376                    // 000000027244: D8EC9200 A0000009
	ds_read_b64 v[162:163], v9 offset:37504                    // 00000002724C: D8EC9280 A2000009
	ds_read_b64 v[164:165], v9 offset:38400                    // 000000027254: D8EC9600 A4000009
	ds_read_b64 v[166:167], v9 offset:38528                    // 00000002725C: D8EC9680 A6000009
	ds_read_b64 v[168:169], v9 offset:39424                    // 000000027264: D8EC9A00 A8000009
	ds_read_b64 v[170:171], v9 offset:39552                    // 00000002726C: D8EC9A80 AA000009
	ds_read_b64 v[172:173], v9 offset:40448                    // 000000027274: D8EC9E00 AC000009
	ds_read_b64 v[174:175], v9 offset:40576                    // 00000002727C: D8EC9E80 AE000009
	s_waitcnt vmcnt(0)                                         // 000000027284: BF8C0F70
	s_barrier                                                  // 000000027288: BF8A0000
	v_mfma_i32_16x16x32_i8 v[176:179], a[64:65], v[112:113], 0 // 00000002728C: D3D700B0 0A02E140
	v_mfma_i32_16x16x32_i8 v[176:179], a[66:67], v[114:115], v[176:179]// 000000027294: D3D700B0 0EC2E542
	v_mfma_i32_16x16x32_i8 v[176:179], a[68:69], v[116:117], v[176:179]// 00000002729C: D3D700B0 0EC2E944
	v_mfma_i32_16x16x32_i8 v[176:179], a[70:71], v[118:119], v[176:179]// 0000000272A4: D3D700B0 0EC2ED46
	v_mfma_i32_16x16x32_i8 v[176:179], a[72:73], v[120:121], v[176:179]// 0000000272AC: D3D700B0 0EC2F148
	v_mfma_i32_16x16x32_i8 v[176:179], a[74:75], v[122:123], v[176:179]// 0000000272B4: D3D700B0 0EC2F54A
	v_mfma_i32_16x16x32_i8 v[176:179], a[76:77], v[124:125], v[176:179]// 0000000272BC: D3D700B0 0EC2F94C
	v_mfma_i32_16x16x32_i8 v[176:179], a[78:79], v[126:127], v[176:179]// 0000000272C4: D3D700B0 0EC2FD4E
	v_mfma_i32_16x16x32_i8 v[180:183], a[80:81], v[112:113], 0 // 0000000272CC: D3D700B4 0A02E150
	v_mfma_i32_16x16x32_i8 v[180:183], a[82:83], v[114:115], v[180:183]// 0000000272D4: D3D700B4 0ED2E552
	v_mfma_i32_16x16x32_i8 v[180:183], a[84:85], v[116:117], v[180:183]// 0000000272DC: D3D700B4 0ED2E954
	v_mfma_i32_16x16x32_i8 v[180:183], a[86:87], v[118:119], v[180:183]// 0000000272E4: D3D700B4 0ED2ED56
	v_mfma_i32_16x16x32_i8 v[180:183], a[88:89], v[120:121], v[180:183]// 0000000272EC: D3D700B4 0ED2F158
	v_mfma_i32_16x16x32_i8 v[180:183], a[90:91], v[122:123], v[180:183]// 0000000272F4: D3D700B4 0ED2F55A
	v_mfma_i32_16x16x32_i8 v[180:183], a[92:93], v[124:125], v[180:183]// 0000000272FC: D3D700B4 0ED2F95C
	v_mfma_i32_16x16x32_i8 v[180:183], a[94:95], v[126:127], v[180:183]// 000000027304: D3D700B4 0ED2FD5E
	v_mfma_i32_16x16x32_i8 v[184:187], a[64:65], v[128:129], 0 // 00000002730C: D3D700B8 0A030140
	v_mfma_i32_16x16x32_i8 v[184:187], a[66:67], v[130:131], v[184:187]// 000000027314: D3D700B8 0EE30542
	v_mfma_i32_16x16x32_i8 v[184:187], a[68:69], v[132:133], v[184:187]// 00000002731C: D3D700B8 0EE30944
	v_mfma_i32_16x16x32_i8 v[184:187], a[70:71], v[134:135], v[184:187]// 000000027324: D3D700B8 0EE30D46
	v_mfma_i32_16x16x32_i8 v[184:187], a[72:73], v[136:137], v[184:187]// 00000002732C: D3D700B8 0EE31148
	v_mfma_i32_16x16x32_i8 v[184:187], a[74:75], v[138:139], v[184:187]// 000000027334: D3D700B8 0EE3154A
	v_mfma_i32_16x16x32_i8 v[184:187], a[76:77], v[140:141], v[184:187]// 00000002733C: D3D700B8 0EE3194C
	v_mfma_i32_16x16x32_i8 v[184:187], a[78:79], v[142:143], v[184:187]// 000000027344: D3D700B8 0EE31D4E
	v_mfma_i32_16x16x32_i8 v[188:191], a[80:81], v[128:129], 0 // 00000002734C: D3D700BC 0A030150
	v_mfma_i32_16x16x32_i8 v[188:191], a[82:83], v[130:131], v[188:191]// 000000027354: D3D700BC 0EF30552
	v_mfma_i32_16x16x32_i8 v[188:191], a[84:85], v[132:133], v[188:191]// 00000002735C: D3D700BC 0EF30954
	v_mfma_i32_16x16x32_i8 v[188:191], a[86:87], v[134:135], v[188:191]// 000000027364: D3D700BC 0EF30D56
	v_mfma_i32_16x16x32_i8 v[188:191], a[88:89], v[136:137], v[188:191]// 00000002736C: D3D700BC 0EF31158
	v_mfma_i32_16x16x32_i8 v[188:191], a[90:91], v[138:139], v[188:191]// 000000027374: D3D700BC 0EF3155A
	v_mfma_i32_16x16x32_i8 v[188:191], a[92:93], v[140:141], v[188:191]// 00000002737C: D3D700BC 0EF3195C
	v_mfma_i32_16x16x32_i8 v[188:191], a[94:95], v[142:143], v[188:191]// 000000027384: D3D700BC 0EF31D5E
	v_mfma_i32_16x16x32_i8 v[192:195], a[64:65], v[144:145], 0 // 00000002738C: D3D700C0 0A032140
	v_mfma_i32_16x16x32_i8 v[192:195], a[66:67], v[146:147], v[192:195]// 000000027394: D3D700C0 0F032542
	v_mfma_i32_16x16x32_i8 v[192:195], a[68:69], v[148:149], v[192:195]// 00000002739C: D3D700C0 0F032944
	v_mfma_i32_16x16x32_i8 v[192:195], a[70:71], v[150:151], v[192:195]// 0000000273A4: D3D700C0 0F032D46
	v_mfma_i32_16x16x32_i8 v[192:195], a[72:73], v[152:153], v[192:195]// 0000000273AC: D3D700C0 0F033148
	v_mfma_i32_16x16x32_i8 v[192:195], a[74:75], v[154:155], v[192:195]// 0000000273B4: D3D700C0 0F03354A
	v_mfma_i32_16x16x32_i8 v[192:195], a[76:77], v[156:157], v[192:195]// 0000000273BC: D3D700C0 0F03394C
	v_mfma_i32_16x16x32_i8 v[192:195], a[78:79], v[158:159], v[192:195]// 0000000273C4: D3D700C0 0F033D4E
	v_mfma_i32_16x16x32_i8 v[196:199], a[80:81], v[144:145], 0 // 0000000273CC: D3D700C4 0A032150
	v_mfma_i32_16x16x32_i8 v[196:199], a[82:83], v[146:147], v[196:199]// 0000000273D4: D3D700C4 0F132552
	v_mfma_i32_16x16x32_i8 v[196:199], a[84:85], v[148:149], v[196:199]// 0000000273DC: D3D700C4 0F132954
	v_mfma_i32_16x16x32_i8 v[196:199], a[86:87], v[150:151], v[196:199]// 0000000273E4: D3D700C4 0F132D56
	v_mfma_i32_16x16x32_i8 v[196:199], a[88:89], v[152:153], v[196:199]// 0000000273EC: D3D700C4 0F133158
	v_mfma_i32_16x16x32_i8 v[196:199], a[90:91], v[154:155], v[196:199]// 0000000273F4: D3D700C4 0F13355A
	v_mfma_i32_16x16x32_i8 v[196:199], a[92:93], v[156:157], v[196:199]// 0000000273FC: D3D700C4 0F13395C
	v_mfma_i32_16x16x32_i8 v[196:199], a[94:95], v[158:159], v[196:199]// 000000027404: D3D700C4 0F133D5E
	v_mfma_i32_16x16x32_i8 v[200:203], a[64:65], v[160:161], 0 // 00000002740C: D3D700C8 0A034140
	v_mfma_i32_16x16x32_i8 v[200:203], a[66:67], v[162:163], v[200:203]// 000000027414: D3D700C8 0F234542
	v_mfma_i32_16x16x32_i8 v[200:203], a[68:69], v[164:165], v[200:203]// 00000002741C: D3D700C8 0F234944
	v_mfma_i32_16x16x32_i8 v[200:203], a[70:71], v[166:167], v[200:203]// 000000027424: D3D700C8 0F234D46
	v_mfma_i32_16x16x32_i8 v[200:203], a[72:73], v[168:169], v[200:203]// 00000002742C: D3D700C8 0F235148
	v_mfma_i32_16x16x32_i8 v[200:203], a[74:75], v[170:171], v[200:203]// 000000027434: D3D700C8 0F23554A
	v_mfma_i32_16x16x32_i8 v[200:203], a[76:77], v[172:173], v[200:203]// 00000002743C: D3D700C8 0F23594C
	v_mfma_i32_16x16x32_i8 v[200:203], a[78:79], v[174:175], v[200:203]// 000000027444: D3D700C8 0F235D4E
	v_mfma_i32_16x16x32_i8 v[204:207], a[80:81], v[160:161], 0 // 00000002744C: D3D700CC 0A034150
	v_mfma_i32_16x16x32_i8 v[204:207], a[82:83], v[162:163], v[204:207]// 000000027454: D3D700CC 0F334552
	v_mfma_i32_16x16x32_i8 v[204:207], a[84:85], v[164:165], v[204:207]// 00000002745C: D3D700CC 0F334954
	v_mfma_i32_16x16x32_i8 v[204:207], a[86:87], v[166:167], v[204:207]// 000000027464: D3D700CC 0F334D56
	v_mfma_i32_16x16x32_i8 v[204:207], a[88:89], v[168:169], v[204:207]// 00000002746C: D3D700CC 0F335158
	v_mfma_i32_16x16x32_i8 v[204:207], a[90:91], v[170:171], v[204:207]// 000000027474: D3D700CC 0F33555A
	v_mfma_i32_16x16x32_i8 v[204:207], a[92:93], v[172:173], v[204:207]// 00000002747C: D3D700CC 0F33595C
	v_mfma_i32_16x16x32_i8 v[204:207], a[94:95], v[174:175], v[204:207]// 000000027484: D3D700CC 0F335D5E
	s_nop 4                                                    // 00000002748C: BF800004
	s_branch label_9F07                                        // 000000027490: BF820A62

0000000000027494 <label_94A5>:
	s_waitcnt vmcnt(8) lgkmcnt(0)                              // 000000027494: BF8C0078
	s_barrier                                                  // 000000027498: BF8A0000
	v_mfma_i32_16x16x32_i8 v[112:115], a[32:33], v[80:81], 0   // 00000002749C: D3D70070 0A02A120
	v_mfma_i32_16x16x32_i8 v[112:115], a[34:35], v[82:83], v[112:115]// 0000000274A4: D3D70070 0DC2A522
	v_mfma_i32_16x16x32_i8 v[112:115], a[36:37], v[84:85], v[112:115]// 0000000274AC: D3D70070 0DC2A924
	v_mfma_i32_16x16x32_i8 v[112:115], a[38:39], v[86:87], v[112:115]// 0000000274B4: D3D70070 0DC2AD26
	v_mfma_i32_16x16x32_i8 v[116:119], a[40:41], v[80:81], 0   // 0000000274BC: D3D70074 0A02A128
	v_mfma_i32_16x16x32_i8 v[116:119], a[42:43], v[82:83], v[116:119]// 0000000274C4: D3D70074 0DD2A52A
	v_mfma_i32_16x16x32_i8 v[116:119], a[44:45], v[84:85], v[116:119]// 0000000274CC: D3D70074 0DD2A92C
	v_mfma_i32_16x16x32_i8 v[116:119], a[46:47], v[86:87], v[116:119]// 0000000274D4: D3D70074 0DD2AD2E
	v_mfma_i32_16x16x32_i8 v[120:123], a[48:49], v[80:81], 0   // 0000000274DC: D3D70078 0A02A130
	v_mfma_i32_16x16x32_i8 v[120:123], a[50:51], v[82:83], v[120:123]// 0000000274E4: D3D70078 0DE2A532
	v_mfma_i32_16x16x32_i8 v[120:123], a[52:53], v[84:85], v[120:123]// 0000000274EC: D3D70078 0DE2A934
	v_mfma_i32_16x16x32_i8 v[120:123], a[54:55], v[86:87], v[120:123]// 0000000274F4: D3D70078 0DE2AD36
	v_mfma_i32_16x16x32_i8 v[124:127], a[56:57], v[80:81], 0   // 0000000274FC: D3D7007C 0A02A138
	v_mfma_i32_16x16x32_i8 v[124:127], a[58:59], v[82:83], v[124:127]// 000000027504: D3D7007C 0DF2A53A
	v_mfma_i32_16x16x32_i8 v[124:127], a[60:61], v[84:85], v[124:127]// 00000002750C: D3D7007C 0DF2A93C
	v_mfma_i32_16x16x32_i8 v[124:127], a[62:63], v[86:87], v[124:127]// 000000027514: D3D7007C 0DF2AD3E
	v_mfma_i32_16x16x32_i8 v[128:131], a[32:33], v[88:89], 0   // 00000002751C: D3D70080 0A02B120
	v_mfma_i32_16x16x32_i8 v[128:131], a[34:35], v[90:91], v[128:131]// 000000027524: D3D70080 0E02B522
	v_mfma_i32_16x16x32_i8 v[128:131], a[36:37], v[92:93], v[128:131]// 00000002752C: D3D70080 0E02B924
	v_mfma_i32_16x16x32_i8 v[128:131], a[38:39], v[94:95], v[128:131]// 000000027534: D3D70080 0E02BD26
	v_mfma_i32_16x16x32_i8 v[132:135], a[40:41], v[88:89], 0   // 00000002753C: D3D70084 0A02B128
	v_mfma_i32_16x16x32_i8 v[132:135], a[42:43], v[90:91], v[132:135]// 000000027544: D3D70084 0E12B52A
	v_mfma_i32_16x16x32_i8 v[132:135], a[44:45], v[92:93], v[132:135]// 00000002754C: D3D70084 0E12B92C
	v_mfma_i32_16x16x32_i8 v[132:135], a[46:47], v[94:95], v[132:135]// 000000027554: D3D70084 0E12BD2E
	v_mfma_i32_16x16x32_i8 v[136:139], a[48:49], v[88:89], 0   // 00000002755C: D3D70088 0A02B130
	v_mfma_i32_16x16x32_i8 v[136:139], a[50:51], v[90:91], v[136:139]// 000000027564: D3D70088 0E22B532
	v_mfma_i32_16x16x32_i8 v[136:139], a[52:53], v[92:93], v[136:139]// 00000002756C: D3D70088 0E22B934
	v_mfma_i32_16x16x32_i8 v[136:139], a[54:55], v[94:95], v[136:139]// 000000027574: D3D70088 0E22BD36
	v_mfma_i32_16x16x32_i8 v[140:143], a[56:57], v[88:89], 0   // 00000002757C: D3D7008C 0A02B138
	v_mfma_i32_16x16x32_i8 v[140:143], a[58:59], v[90:91], v[140:143]// 000000027584: D3D7008C 0E32B53A
	v_mfma_i32_16x16x32_i8 v[140:143], a[60:61], v[92:93], v[140:143]// 00000002758C: D3D7008C 0E32B93C
	v_mfma_i32_16x16x32_i8 v[140:143], a[62:63], v[94:95], v[140:143]// 000000027594: D3D7008C 0E32BD3E
	v_mfma_i32_16x16x32_i8 v[144:147], a[32:33], v[96:97], 0   // 00000002759C: D3D70090 0A02C120
	v_mfma_i32_16x16x32_i8 v[144:147], a[34:35], v[98:99], v[144:147]// 0000000275A4: D3D70090 0E42C522
	v_mfma_i32_16x16x32_i8 v[144:147], a[36:37], v[100:101], v[144:147]// 0000000275AC: D3D70090 0E42C924
	v_mfma_i32_16x16x32_i8 v[144:147], a[38:39], v[102:103], v[144:147]// 0000000275B4: D3D70090 0E42CD26
	v_mfma_i32_16x16x32_i8 v[148:151], a[40:41], v[96:97], 0   // 0000000275BC: D3D70094 0A02C128
	v_mfma_i32_16x16x32_i8 v[148:151], a[42:43], v[98:99], v[148:151]// 0000000275C4: D3D70094 0E52C52A
	v_mfma_i32_16x16x32_i8 v[148:151], a[44:45], v[100:101], v[148:151]// 0000000275CC: D3D70094 0E52C92C
	v_mfma_i32_16x16x32_i8 v[148:151], a[46:47], v[102:103], v[148:151]// 0000000275D4: D3D70094 0E52CD2E
	v_mfma_i32_16x16x32_i8 v[152:155], a[48:49], v[96:97], 0   // 0000000275DC: D3D70098 0A02C130
	v_mfma_i32_16x16x32_i8 v[152:155], a[50:51], v[98:99], v[152:155]// 0000000275E4: D3D70098 0E62C532
	v_mfma_i32_16x16x32_i8 v[152:155], a[52:53], v[100:101], v[152:155]// 0000000275EC: D3D70098 0E62C934
	v_mfma_i32_16x16x32_i8 v[152:155], a[54:55], v[102:103], v[152:155]// 0000000275F4: D3D70098 0E62CD36
	v_mfma_i32_16x16x32_i8 v[156:159], a[56:57], v[96:97], 0   // 0000000275FC: D3D7009C 0A02C138
	v_mfma_i32_16x16x32_i8 v[156:159], a[58:59], v[98:99], v[156:159]// 000000027604: D3D7009C 0E72C53A
	v_mfma_i32_16x16x32_i8 v[156:159], a[60:61], v[100:101], v[156:159]// 00000002760C: D3D7009C 0E72C93C
	v_mfma_i32_16x16x32_i8 v[156:159], a[62:63], v[102:103], v[156:159]// 000000027614: D3D7009C 0E72CD3E
	v_mfma_i32_16x16x32_i8 v[160:163], a[32:33], v[104:105], 0 // 00000002761C: D3D700A0 0A02D120
	v_mfma_i32_16x16x32_i8 v[160:163], a[34:35], v[106:107], v[160:163]// 000000027624: D3D700A0 0E82D522
	v_mfma_i32_16x16x32_i8 v[160:163], a[36:37], v[108:109], v[160:163]// 00000002762C: D3D700A0 0E82D924
	v_mfma_i32_16x16x32_i8 v[160:163], a[38:39], v[110:111], v[160:163]// 000000027634: D3D700A0 0E82DD26
	v_mfma_i32_16x16x32_i8 v[164:167], a[40:41], v[104:105], 0 // 00000002763C: D3D700A4 0A02D128
	v_mfma_i32_16x16x32_i8 v[164:167], a[42:43], v[106:107], v[164:167]// 000000027644: D3D700A4 0E92D52A
	v_mfma_i32_16x16x32_i8 v[164:167], a[44:45], v[108:109], v[164:167]// 00000002764C: D3D700A4 0E92D92C
	v_mfma_i32_16x16x32_i8 v[164:167], a[46:47], v[110:111], v[164:167]// 000000027654: D3D700A4 0E92DD2E
	v_mfma_i32_16x16x32_i8 v[168:171], a[48:49], v[104:105], 0 // 00000002765C: D3D700A8 0A02D130
	v_mfma_i32_16x16x32_i8 v[168:171], a[50:51], v[106:107], v[168:171]// 000000027664: D3D700A8 0EA2D532
	v_mfma_i32_16x16x32_i8 v[168:171], a[52:53], v[108:109], v[168:171]// 00000002766C: D3D700A8 0EA2D934
	v_mfma_i32_16x16x32_i8 v[168:171], a[54:55], v[110:111], v[168:171]// 000000027674: D3D700A8 0EA2DD36
	v_mfma_i32_16x16x32_i8 v[172:175], a[56:57], v[104:105], 0 // 00000002767C: D3D700AC 0A02D138
	v_mfma_i32_16x16x32_i8 v[172:175], a[58:59], v[106:107], v[172:175]// 000000027684: D3D700AC 0EB2D53A
	v_mfma_i32_16x16x32_i8 v[172:175], a[60:61], v[108:109], v[172:175]// 00000002768C: D3D700AC 0EB2D93C
	v_mfma_i32_16x16x32_i8 v[172:175], a[62:63], v[110:111], v[172:175]// 000000027694: D3D700AC 0EB2DD3E
	v_mov_b32_dpp v64, v43 row_shr:4 row_mask:0xf bank_mask:0xf// 00000002769C: 7E8002FA FF01142B
	v_mov_b32_dpp v65, v43 row_shl:4 row_mask:0xf bank_mask:0xf// 0000000276A4: 7E8202FA FF01042B
	v_cndmask_b32_e64 v248, v43, v64, s[44:45]                 // 0000000276AC: D10000F8 00B2812B
	v_cndmask_b32_e64 v249, v65, v43, s[44:45]                 // 0000000276B4: D10000F9 00B25741
	v_mov_b32_dpp v64, v248 row_shr:8 row_mask:0xf bank_mask:0xf// 0000000276BC: 7E8002FA FF0118F8
	v_mov_b32_dpp v65, v248 row_shl:8 row_mask:0xf bank_mask:0xf// 0000000276C4: 7E8202FA FF0108F8
	v_mov_b32_dpp v66, v249 row_shr:8 row_mask:0xf bank_mask:0xf// 0000000276CC: 7E8402FA FF0118F9
	v_mov_b32_dpp v67, v249 row_shl:8 row_mask:0xf bank_mask:0xf// 0000000276D4: 7E8602FA FF0108F9
	v_mov_b32_e32 v68, v248                                    // 0000000276DC: 7E8803F8
	v_mov_b32_e32 v69, v249                                    // 0000000276E0: 7E8A03F9
	v_cndmask_b32_e64 v248, v68, v64, s[42:43]                 // 0000000276E4: D10000F8 00AA8144
	v_cndmask_b32_e64 v250, v68, v65, s[78:79]                 // 0000000276EC: D10000FA 013A8344
	v_cndmask_b32_e64 v249, v69, v66, s[42:43]                 // 0000000276F4: D10000F9 00AA8545
	v_cndmask_b32_e64 v251, v69, v67, s[78:79]                 // 0000000276FC: D10000FB 013A8745
	v_mov_b32_dpp v64, v58 row_shr:4 row_mask:0xf bank_mask:0xf// 000000027704: 7E8002FA FF01143A
	v_mov_b32_dpp v65, v58 row_shl:4 row_mask:0xf bank_mask:0xf// 00000002770C: 7E8202FA FF01043A
	v_cndmask_b32_e64 v252, v58, v64, s[44:45]                 // 000000027714: D10000FC 00B2813A
	v_cndmask_b32_e64 v253, v65, v58, s[44:45]                 // 00000002771C: D10000FD 00B27541
	v_mov_b32_dpp v64, v252 row_shr:8 row_mask:0xf bank_mask:0xf// 000000027724: 7E8002FA FF0118FC
	v_mov_b32_dpp v65, v252 row_shl:8 row_mask:0xf bank_mask:0xf// 00000002772C: 7E8202FA FF0108FC
	v_mov_b32_dpp v66, v253 row_shr:8 row_mask:0xf bank_mask:0xf// 000000027734: 7E8402FA FF0118FD
	v_mov_b32_dpp v67, v253 row_shl:8 row_mask:0xf bank_mask:0xf// 00000002773C: 7E8602FA FF0108FD
	v_mov_b32_e32 v68, v252                                    // 000000027744: 7E8803FC
	v_mov_b32_e32 v69, v253                                    // 000000027748: 7E8A03FD
	v_cndmask_b32_e64 v252, v68, v64, s[42:43]                 // 00000002774C: D10000FC 00AA8144
	v_cndmask_b32_e64 v254, v68, v65, s[78:79]                 // 000000027754: D10000FE 013A8344
	v_cndmask_b32_e64 v253, v69, v66, s[42:43]                 // 00000002775C: D10000FD 00AA8545
	v_cndmask_b32_e64 v255, v69, v67, s[78:79]                 // 000000027764: D10000FF 013A8745
	v_cvt_f32_i32_e32 v112, v112                               // 00000002776C: 7EE00B70
	v_cvt_f32_i32_e32 v113, v113                               // 000000027770: 7EE20B71
	v_cvt_f32_i32_e32 v114, v114                               // 000000027774: 7EE40B72
	v_cvt_f32_i32_e32 v115, v115                               // 000000027778: 7EE60B73
	v_cvt_f32_i32_e32 v116, v116                               // 00000002777C: 7EE80B74
	v_cvt_f32_i32_e32 v117, v117                               // 000000027780: 7EEA0B75
	v_cvt_f32_i32_e32 v118, v118                               // 000000027784: 7EEC0B76
	v_cvt_f32_i32_e32 v119, v119                               // 000000027788: 7EEE0B77
	v_cvt_f32_i32_e32 v120, v120                               // 00000002778C: 7EF00B78
	v_cvt_f32_i32_e32 v121, v121                               // 000000027790: 7EF20B79
	v_cvt_f32_i32_e32 v122, v122                               // 000000027794: 7EF40B7A
	v_cvt_f32_i32_e32 v123, v123                               // 000000027798: 7EF60B7B
	v_cvt_f32_i32_e32 v124, v124                               // 00000002779C: 7EF80B7C
	v_cvt_f32_i32_e32 v125, v125                               // 0000000277A0: 7EFA0B7D
	v_cvt_f32_i32_e32 v126, v126                               // 0000000277A4: 7EFC0B7E
	v_cvt_f32_i32_e32 v127, v127                               // 0000000277A8: 7EFE0B7F
	v_mul_f32_e32 v112, v18, v112                              // 0000000277AC: 0AE0E112
	v_mul_f32_e32 v113, v18, v113                              // 0000000277B0: 0AE2E312
	v_mul_f32_e32 v114, v18, v114                              // 0000000277B4: 0AE4E512
	v_mul_f32_e32 v115, v18, v115                              // 0000000277B8: 0AE6E712
	v_mul_f32_e32 v116, v18, v116                              // 0000000277BC: 0AE8E912
	v_mul_f32_e32 v117, v18, v117                              // 0000000277C0: 0AEAEB12
	v_mul_f32_e32 v118, v18, v118                              // 0000000277C4: 0AECED12
	v_mul_f32_e32 v119, v18, v119                              // 0000000277C8: 0AEEEF12
	v_mul_f32_e32 v120, v18, v120                              // 0000000277CC: 0AF0F112
	v_mul_f32_e32 v121, v18, v121                              // 0000000277D0: 0AF2F312
	v_mul_f32_e32 v122, v18, v122                              // 0000000277D4: 0AF4F512
	v_mul_f32_e32 v123, v18, v123                              // 0000000277D8: 0AF6F712
	v_mul_f32_e32 v124, v18, v124                              // 0000000277DC: 0AF8F912
	v_mul_f32_e32 v125, v18, v125                              // 0000000277E0: 0AFAFB12
	v_mul_f32_e32 v126, v18, v126                              // 0000000277E4: 0AFCFD12
	v_mul_f32_e32 v127, v18, v127                              // 0000000277E8: 0AFEFF12
	v_mul_f32_dpp v112, v248, v112 quad_perm:[0,0,0,0] row_mask:0xf bank_mask:0xf// 0000000277EC: 0AE0E0FA FF0000F8
	v_mul_f32_dpp v113, v248, v113 quad_perm:[1,1,1,1] row_mask:0xf bank_mask:0xf// 0000000277F4: 0AE2E2FA FF0055F8
	v_mul_f32_dpp v114, v248, v114 quad_perm:[2,2,2,2] row_mask:0xf bank_mask:0xf// 0000000277FC: 0AE4E4FA FF00AAF8
	v_mul_f32_dpp v115, v248, v115 quad_perm:[3,3,3,3] row_mask:0xf bank_mask:0xf// 000000027804: 0AE6E6FA FF00FFF8
	v_mul_f32_dpp v116, v249, v116 quad_perm:[0,0,0,0] row_mask:0xf bank_mask:0xf// 00000002780C: 0AE8E8FA FF0000F9
	v_mul_f32_dpp v117, v249, v117 quad_perm:[1,1,1,1] row_mask:0xf bank_mask:0xf// 000000027814: 0AEAEAFA FF0055F9
	v_mul_f32_dpp v118, v249, v118 quad_perm:[2,2,2,2] row_mask:0xf bank_mask:0xf// 00000002781C: 0AECECFA FF00AAF9
	v_mul_f32_dpp v119, v249, v119 quad_perm:[3,3,3,3] row_mask:0xf bank_mask:0xf// 000000027824: 0AEEEEFA FF00FFF9
	v_mul_f32_dpp v120, v250, v120 quad_perm:[0,0,0,0] row_mask:0xf bank_mask:0xf// 00000002782C: 0AF0F0FA FF0000FA
	v_mul_f32_dpp v121, v250, v121 quad_perm:[1,1,1,1] row_mask:0xf bank_mask:0xf// 000000027834: 0AF2F2FA FF0055FA
	v_mul_f32_dpp v122, v250, v122 quad_perm:[2,2,2,2] row_mask:0xf bank_mask:0xf// 00000002783C: 0AF4F4FA FF00AAFA
	v_mul_f32_dpp v123, v250, v123 quad_perm:[3,3,3,3] row_mask:0xf bank_mask:0xf// 000000027844: 0AF6F6FA FF00FFFA
	v_mul_f32_dpp v124, v251, v124 quad_perm:[0,0,0,0] row_mask:0xf bank_mask:0xf// 00000002784C: 0AF8F8FA FF0000FB
	v_mul_f32_dpp v125, v251, v125 quad_perm:[1,1,1,1] row_mask:0xf bank_mask:0xf// 000000027854: 0AFAFAFA FF0055FB
	v_mul_f32_dpp v126, v251, v126 quad_perm:[2,2,2,2] row_mask:0xf bank_mask:0xf// 00000002785C: 0AFCFCFA FF00AAFB
	v_mul_f32_dpp v127, v251, v127 quad_perm:[3,3,3,3] row_mask:0xf bank_mask:0xf// 000000027864: 0AFEFEFA FF00FFFB
	s_and_b32 s60, s72, 0xff                                   // 00000002786C: 863CFF48 000000FF
	v_mov_b32_e32 v65, s60                                     // 000000027874: 7E82023C
	v_lshrrev_b32_e32 v240, 4, v0                              // 000000027878: 21E00084
	v_mul_i32_i24_e32 v240, 4, v240                            // 00000002787C: 0DE1E084
	s_mul_i32 s60, s7, 16                                      // 000000027880: 923C9007
	v_add_u32_e32 v240, s60, v240                              // 000000027884: 69E1E03C
	v_add_u32_e32 v241, 1, v240                                // 000000027888: 69E3E081
	v_add_u32_e32 v242, 2, v240                                // 00000002788C: 69E5E082
	v_add_u32_e32 v243, 3, v240                                // 000000027890: 69E7E083
	v_mov_b32_e32 v64, 0xff800000                              // 000000027894: 7E8002FF FF800000
	v_cmp_lt_u32_e64 s[40:41], v240, v65                       // 00000002789C: D0C90028 000283F0
	v_add_u32_e32 v240, 64, v240                               // 0000000278A4: 69E1E0C0
	s_nop 0                                                    // 0000000278A8: BF800000
	v_cndmask_b32_e64 v112, v64, v112, s[40:41]                // 0000000278AC: D1000070 00A2E140
	v_cmp_lt_u32_e64 s[40:41], v241, v65                       // 0000000278B4: D0C90028 000283F1
	v_add_u32_e32 v241, 64, v241                               // 0000000278BC: 69E3E2C0
	s_nop 0                                                    // 0000000278C0: BF800000
	v_cndmask_b32_e64 v113, v64, v113, s[40:41]                // 0000000278C4: D1000071 00A2E340
	v_cmp_lt_u32_e64 s[40:41], v242, v65                       // 0000000278CC: D0C90028 000283F2
	v_add_u32_e32 v242, 64, v242                               // 0000000278D4: 69E5E4C0
	s_nop 0                                                    // 0000000278D8: BF800000
	v_cndmask_b32_e64 v114, v64, v114, s[40:41]                // 0000000278DC: D1000072 00A2E540
	v_cmp_lt_u32_e64 s[40:41], v243, v65                       // 0000000278E4: D0C90028 000283F3
	v_add_u32_e32 v243, 64, v243                               // 0000000278EC: 69E7E6C0
	s_nop 0                                                    // 0000000278F0: BF800000
	v_cndmask_b32_e64 v115, v64, v115, s[40:41]                // 0000000278F4: D1000073 00A2E740
	v_cmp_lt_u32_e64 s[40:41], v240, v65                       // 0000000278FC: D0C90028 000283F0
	v_add_u32_e32 v240, 64, v240                               // 000000027904: 69E1E0C0
	s_nop 0                                                    // 000000027908: BF800000
	v_cndmask_b32_e64 v116, v64, v116, s[40:41]                // 00000002790C: D1000074 00A2E940
	v_cmp_lt_u32_e64 s[40:41], v241, v65                       // 000000027914: D0C90028 000283F1
	v_add_u32_e32 v241, 64, v241                               // 00000002791C: 69E3E2C0
	s_nop 0                                                    // 000000027920: BF800000
	v_cndmask_b32_e64 v117, v64, v117, s[40:41]                // 000000027924: D1000075 00A2EB40
	v_cmp_lt_u32_e64 s[40:41], v242, v65                       // 00000002792C: D0C90028 000283F2
	v_add_u32_e32 v242, 64, v242                               // 000000027934: 69E5E4C0
	s_nop 0                                                    // 000000027938: BF800000
	v_cndmask_b32_e64 v118, v64, v118, s[40:41]                // 00000002793C: D1000076 00A2ED40
	v_cmp_lt_u32_e64 s[40:41], v243, v65                       // 000000027944: D0C90028 000283F3
	v_add_u32_e32 v243, 64, v243                               // 00000002794C: 69E7E6C0
	s_nop 0                                                    // 000000027950: BF800000
	v_cndmask_b32_e64 v119, v64, v119, s[40:41]                // 000000027954: D1000077 00A2EF40
	v_cmp_lt_u32_e64 s[40:41], v240, v65                       // 00000002795C: D0C90028 000283F0
	v_add_u32_e32 v240, 64, v240                               // 000000027964: 69E1E0C0
	s_nop 0                                                    // 000000027968: BF800000
	v_cndmask_b32_e64 v120, v64, v120, s[40:41]                // 00000002796C: D1000078 00A2F140
	v_cmp_lt_u32_e64 s[40:41], v241, v65                       // 000000027974: D0C90028 000283F1
	v_add_u32_e32 v241, 64, v241                               // 00000002797C: 69E3E2C0
	s_nop 0                                                    // 000000027980: BF800000
	v_cndmask_b32_e64 v121, v64, v121, s[40:41]                // 000000027984: D1000079 00A2F340
	v_cmp_lt_u32_e64 s[40:41], v242, v65                       // 00000002798C: D0C90028 000283F2
	v_add_u32_e32 v242, 64, v242                               // 000000027994: 69E5E4C0
	s_nop 0                                                    // 000000027998: BF800000
	v_cndmask_b32_e64 v122, v64, v122, s[40:41]                // 00000002799C: D100007A 00A2F540
	v_cmp_lt_u32_e64 s[40:41], v243, v65                       // 0000000279A4: D0C90028 000283F3
	v_add_u32_e32 v243, 64, v243                               // 0000000279AC: 69E7E6C0
	s_nop 0                                                    // 0000000279B0: BF800000
	v_cndmask_b32_e64 v123, v64, v123, s[40:41]                // 0000000279B4: D100007B 00A2F740
	v_cmp_lt_u32_e64 s[40:41], v240, v65                       // 0000000279BC: D0C90028 000283F0
	v_add_u32_e32 v240, 64, v240                               // 0000000279C4: 69E1E0C0
	s_nop 0                                                    // 0000000279C8: BF800000
	v_cndmask_b32_e64 v124, v64, v124, s[40:41]                // 0000000279CC: D100007C 00A2F940
	v_cmp_lt_u32_e64 s[40:41], v241, v65                       // 0000000279D4: D0C90028 000283F1
	v_add_u32_e32 v241, 64, v241                               // 0000000279DC: 69E3E2C0
	s_nop 0                                                    // 0000000279E0: BF800000
	v_cndmask_b32_e64 v125, v64, v125, s[40:41]                // 0000000279E4: D100007D 00A2FB40
	v_cmp_lt_u32_e64 s[40:41], v242, v65                       // 0000000279EC: D0C90028 000283F2
	v_add_u32_e32 v242, 64, v242                               // 0000000279F4: 69E5E4C0
	s_nop 0                                                    // 0000000279F8: BF800000
	v_cndmask_b32_e64 v126, v64, v126, s[40:41]                // 0000000279FC: D100007E 00A2FD40
	v_cmp_lt_u32_e64 s[40:41], v243, v65                       // 000000027A04: D0C90028 000283F3
	v_add_u32_e32 v243, 64, v243                               // 000000027A0C: 69E7E6C0
	s_nop 0                                                    // 000000027A10: BF800000
	v_cndmask_b32_e64 v127, v64, v127, s[40:41]                // 000000027A14: D100007F 00A2FF40
	v_mov_b32_e32 v48, v112                                    // 000000027A1C: 7E600370
	v_max3_f32 v48, v112, v113, v48                            // 000000027A20: D1D30030 04C2E370
	v_max3_f32 v48, v114, v115, v48                            // 000000027A28: D1D30030 04C2E772
	v_max3_f32 v48, v116, v117, v48                            // 000000027A30: D1D30030 04C2EB74
	v_max3_f32 v48, v118, v119, v48                            // 000000027A38: D1D30030 04C2EF76
	v_max3_f32 v48, v120, v121, v48                            // 000000027A40: D1D30030 04C2F378
	v_max3_f32 v48, v122, v123, v48                            // 000000027A48: D1D30030 04C2F77A
	v_max3_f32 v48, v124, v125, v48                            // 000000027A50: D1D30030 04C2FB7C
	v_max3_f32 v48, v126, v127, v48                            // 000000027A58: D1D30030 04C2FF7E
	ds_write_b32 v8, v48 offset:16896                          // 000000027A60: D81A4200 00003008
	v_mul_u32_u24_dpp v64, v16, v54 row_newbcast:1 row_mask:0xf bank_mask:0xf// 000000027A68: 10806CFA FF015110
	v_mul_u32_u24_dpp v65, v16, v54 row_newbcast:5 row_mask:0xf bank_mask:0xf// 000000027A70: 10826CFA FF015510
	v_mul_u32_u24_dpp v66, v16, v54 row_newbcast:9 row_mask:0xf bank_mask:0xf// 000000027A78: 10846CFA FF015910
	v_mul_u32_u24_dpp v67, v16, v54 row_newbcast:13 row_mask:0xf bank_mask:0xf// 000000027A80: 10866CFA FF015D10
	v_add_u32_e32 v30, v64, v6                                 // 000000027A88: 683C0D40
	v_add_u32_e32 v31, v65, v6                                 // 000000027A8C: 683E0D41
	v_add_u32_e32 v32, v66, v6                                 // 000000027A90: 68400D42
	v_add_u32_e32 v33, v67, v6                                 // 000000027A94: 68420D43
	v_mul_f32_e32 v208, v49, v208                              // 000000027A98: 0BA1A131
	v_mul_f32_e32 v209, v49, v209                              // 000000027A9C: 0BA3A331
	v_mul_f32_e32 v210, v49, v210                              // 000000027AA0: 0BA5A531
	v_mul_f32_e32 v211, v49, v211                              // 000000027AA4: 0BA7A731
	v_mul_f32_e32 v212, v49, v212                              // 000000027AA8: 0BA9A931
	v_mul_f32_e32 v213, v49, v213                              // 000000027AAC: 0BABAB31
	v_mul_f32_e32 v214, v49, v214                              // 000000027AB0: 0BADAD31
	v_mul_f32_e32 v215, v49, v215                              // 000000027AB4: 0BAFAF31
	s_waitcnt lgkmcnt(0)                                       // 000000027AB8: BF8CC07F
	s_barrier                                                  // 000000027ABC: BF8A0000
	ds_read_b32 v64, v7 offset:16896                           // 000000027AC0: D86C4200 40000007
	ds_read_b32 v65, v7 offset:16960                           // 000000027AC8: D86C4240 41000007
	ds_read_b32 v66, v7 offset:17024                           // 000000027AD0: D86C4280 42000007
	ds_read_b32 v67, v7 offset:17088                           // 000000027AD8: D86C42C0 43000007
	ds_read_b32 v68, v7 offset:17152                           // 000000027AE0: D86C4300 44000007
	ds_read_b32 v69, v7 offset:17216                           // 000000027AE8: D86C4340 45000007
	ds_read_b32 v70, v7 offset:17280                           // 000000027AF0: D86C4380 46000007
	ds_read_b32 v71, v7 offset:17344                           // 000000027AF8: D86C43C0 47000007
	ds_read_b32 v72, v7 offset:17408                           // 000000027B00: D86C4400 48000007
	ds_read_b32 v73, v7 offset:17472                           // 000000027B08: D86C4440 49000007
	ds_read_b32 v74, v7 offset:17536                           // 000000027B10: D86C4480 4A000007
	ds_read_b32 v75, v7 offset:17600                           // 000000027B18: D86C44C0 4B000007
	ds_read_b32 v76, v7 offset:17664                           // 000000027B20: D86C4500 4C000007
	ds_read_b32 v77, v7 offset:17728                           // 000000027B28: D86C4540 4D000007
	ds_read_b32 v78, v7 offset:17792                           // 000000027B30: D86C4580 4E000007
	ds_read_b32 v79, v7 offset:17856                           // 000000027B38: D86C45C0 4F000007
	v_cvt_f32_i32_e32 v176, v176                               // 000000027B40: 7F600BB0
	v_cvt_f32_i32_e32 v177, v177                               // 000000027B44: 7F620BB1
	v_cvt_f32_i32_e32 v178, v178                               // 000000027B48: 7F640BB2
	v_cvt_f32_i32_e32 v179, v179                               // 000000027B4C: 7F660BB3
	v_cvt_f32_i32_e32 v180, v180                               // 000000027B50: 7F680BB4
	v_cvt_f32_i32_e32 v181, v181                               // 000000027B54: 7F6A0BB5
	v_cvt_f32_i32_e32 v182, v182                               // 000000027B58: 7F6C0BB6
	v_cvt_f32_i32_e32 v183, v183                               // 000000027B5C: 7F6E0BB7
	v_mul_f32_e32 v176, v44, v176                              // 000000027B60: 0B61612C
	v_mul_f32_e32 v177, v44, v177                              // 000000027B64: 0B63632C
	v_mul_f32_e32 v178, v44, v178                              // 000000027B68: 0B65652C
	v_mul_f32_e32 v179, v44, v179                              // 000000027B6C: 0B67672C
	v_mul_f32_e32 v180, v44, v180                              // 000000027B70: 0B69692C
	v_mul_f32_e32 v181, v44, v181                              // 000000027B74: 0B6B6B2C
	v_mul_f32_e32 v182, v44, v182                              // 000000027B78: 0B6D6D2C
	v_mul_f32_e32 v183, v44, v183                              // 000000027B7C: 0B6F6F2C
	s_waitcnt lgkmcnt(0)                                       // 000000027B80: BF8CC07F
	v_max3_f32 v48, v64, v65, v48                              // 000000027B84: D1D30030 04C28340
	v_max3_f32 v48, v66, v67, v48                              // 000000027B8C: D1D30030 04C28742
	v_max3_f32 v48, v68, v69, v48                              // 000000027B94: D1D30030 04C28B44
	v_max3_f32 v48, v70, v71, v48                              // 000000027B9C: D1D30030 04C28F46
	v_max3_f32 v48, v72, v73, v48                              // 000000027BA4: D1D30030 04C29348
	v_max3_f32 v48, v74, v75, v48                              // 000000027BAC: D1D30030 04C2974A
	v_max3_f32 v48, v76, v77, v48                              // 000000027BB4: D1D30030 04C29B4C
	v_max3_f32 v48, v78, v79, v48                              // 000000027BBC: D1D30030 04C29F4E
	v_mov_b32_e32 v64, 0xff800000                              // 000000027BC4: 7E8002FF FF800000
	v_cmp_eq_u32_e64 s[40:41], v64, v11                        // 000000027BCC: D0CA0028 00021740
	s_nop 1                                                    // 000000027BD4: BF800001
	v_max_f32_e32 v15, v48, v11                                // 000000027BD8: 161E1730
	v_mul_f32_e32 v53, s64, v15                                // 000000027BDC: 0A6A1E40
	v_fma_f32 v112, v112, s64, -v53                            // 000000027BE0: D1CB0070 84D48170
	v_fma_f32 v113, v113, s64, -v53                            // 000000027BE8: D1CB0071 84D48171
	v_fma_f32 v114, v114, s64, -v53                            // 000000027BF0: D1CB0072 84D48172
	v_fma_f32 v115, v115, s64, -v53                            // 000000027BF8: D1CB0073 84D48173
	v_fma_f32 v116, v116, s64, -v53                            // 000000027C00: D1CB0074 84D48174
	v_fma_f32 v117, v117, s64, -v53                            // 000000027C08: D1CB0075 84D48175
	v_fma_f32 v118, v118, s64, -v53                            // 000000027C10: D1CB0076 84D48176
	v_fma_f32 v119, v119, s64, -v53                            // 000000027C18: D1CB0077 84D48177
	v_fma_f32 v120, v120, s64, -v53                            // 000000027C20: D1CB0078 84D48178
	v_fma_f32 v121, v121, s64, -v53                            // 000000027C28: D1CB0079 84D48179
	v_fma_f32 v122, v122, s64, -v53                            // 000000027C30: D1CB007A 84D4817A
	v_fma_f32 v123, v123, s64, -v53                            // 000000027C38: D1CB007B 84D4817B
	v_fma_f32 v124, v124, s64, -v53                            // 000000027C40: D1CB007C 84D4817C
	v_fma_f32 v125, v125, s64, -v53                            // 000000027C48: D1CB007D 84D4817D
	v_fma_f32 v126, v126, s64, -v53                            // 000000027C50: D1CB007E 84D4817E
	v_fma_f32 v127, v127, s64, -v53                            // 000000027C58: D1CB007F 84D4817F
	v_exp_f32_e32 v112, v112                                   // 000000027C60: 7EE04170
	v_exp_f32_e32 v113, v113                                   // 000000027C64: 7EE24171
	v_exp_f32_e32 v114, v114                                   // 000000027C68: 7EE44172
	v_exp_f32_e32 v115, v115                                   // 000000027C6C: 7EE64173
	v_exp_f32_e32 v116, v116                                   // 000000027C70: 7EE84174
	v_exp_f32_e32 v117, v117                                   // 000000027C74: 7EEA4175
	v_exp_f32_e32 v118, v118                                   // 000000027C78: 7EEC4176
	v_exp_f32_e32 v119, v119                                   // 000000027C7C: 7EEE4177
	v_exp_f32_e32 v120, v120                                   // 000000027C80: 7EF04178
	v_exp_f32_e32 v121, v121                                   // 000000027C84: 7EF24179
	v_exp_f32_e32 v122, v122                                   // 000000027C88: 7EF4417A
	v_exp_f32_e32 v123, v123                                   // 000000027C8C: 7EF6417B
	v_exp_f32_e32 v124, v124                                   // 000000027C90: 7EF8417C
	v_exp_f32_e32 v125, v125                                   // 000000027C94: 7EFA417D
	v_exp_f32_e32 v126, v126                                   // 000000027C98: 7EFC417E
	v_exp_f32_e32 v127, v127                                   // 000000027C9C: 7EFE417F
	v_mul_f32_dpp v240, v252, v112 quad_perm:[0,0,0,0] row_mask:0xf bank_mask:0xf// 000000027CA0: 0BE0E0FA FF0000FC
	v_mul_f32_dpp v241, v252, v113 quad_perm:[1,1,1,1] row_mask:0xf bank_mask:0xf// 000000027CA8: 0BE2E2FA FF0055FC
	v_mul_f32_dpp v242, v252, v114 quad_perm:[2,2,2,2] row_mask:0xf bank_mask:0xf// 000000027CB0: 0BE4E4FA FF00AAFC
	v_mul_f32_dpp v243, v252, v115 quad_perm:[3,3,3,3] row_mask:0xf bank_mask:0xf// 000000027CB8: 0BE6E6FA FF00FFFC
	v_mul_f32_dpp v244, v253, v116 quad_perm:[0,0,0,0] row_mask:0xf bank_mask:0xf// 000000027CC0: 0BE8E8FA FF0000FD
	v_mul_f32_dpp v245, v253, v117 quad_perm:[1,1,1,1] row_mask:0xf bank_mask:0xf// 000000027CC8: 0BEAEAFA FF0055FD
	v_mul_f32_dpp v246, v253, v118 quad_perm:[2,2,2,2] row_mask:0xf bank_mask:0xf// 000000027CD0: 0BECECFA FF00AAFD
	v_mul_f32_dpp v247, v253, v119 quad_perm:[3,3,3,3] row_mask:0xf bank_mask:0xf// 000000027CD8: 0BEEEEFA FF00FFFD
	v_mul_f32_dpp v248, v254, v120 quad_perm:[0,0,0,0] row_mask:0xf bank_mask:0xf// 000000027CE0: 0BF0F0FA FF0000FE
	v_mul_f32_dpp v249, v254, v121 quad_perm:[1,1,1,1] row_mask:0xf bank_mask:0xf// 000000027CE8: 0BF2F2FA FF0055FE
	v_mul_f32_dpp v250, v254, v122 quad_perm:[2,2,2,2] row_mask:0xf bank_mask:0xf// 000000027CF0: 0BF4F4FA FF00AAFE
	v_mul_f32_dpp v251, v254, v123 quad_perm:[3,3,3,3] row_mask:0xf bank_mask:0xf// 000000027CF8: 0BF6F6FA FF00FFFE
	v_mul_f32_dpp v252, v255, v124 quad_perm:[0,0,0,0] row_mask:0xf bank_mask:0xf// 000000027D00: 0BF8F8FA FF0000FF
	v_mul_f32_dpp v253, v255, v125 quad_perm:[1,1,1,1] row_mask:0xf bank_mask:0xf// 000000027D08: 0BFAFAFA FF0055FF
	v_mul_f32_dpp v254, v255, v126 quad_perm:[2,2,2,2] row_mask:0xf bank_mask:0xf// 000000027D10: 0BFCFCFA FF00AAFF
	v_mul_f32_dpp v255, v255, v127 quad_perm:[3,3,3,3] row_mask:0xf bank_mask:0xf// 000000027D18: 0BFEFEFA FF00FFFF
	v_mov_b32_e32 v48, 0x358637bd                              // 000000027D20: 7E6002FF 358637BD
	v_max3_f32 v48, |v240|, |v241|, v48                        // 000000027D28: D1D30330 04C3E3F0
	v_max3_f32 v48, |v242|, |v243|, v48                        // 000000027D30: D1D30330 04C3E7F2
	v_max3_f32 v48, |v244|, |v245|, v48                        // 000000027D38: D1D30330 04C3EBF4
	v_max3_f32 v48, |v246|, |v247|, v48                        // 000000027D40: D1D30330 04C3EFF6
	v_max3_f32 v48, |v248|, |v249|, v48                        // 000000027D48: D1D30330 04C3F3F8
	v_max3_f32 v48, |v250|, |v251|, v48                        // 000000027D50: D1D30330 04C3F7FA
	v_max3_f32 v48, |v252|, |v253|, v48                        // 000000027D58: D1D30330 04C3FBFC
	v_max3_f32 v48, |v254|, |v255|, v48                        // 000000027D60: D1D30330 04C3FFFE
	ds_write_b32 v8, v48 offset:20992                          // 000000027D68: D81A5200 00003008
	v_sub_f32_e32 v49, v11, v15                                // 000000027D70: 04621F0B
	v_cndmask_b32_e64 v49, v49, 0, s[40:41]                    // 000000027D74: D1000031 00A10131
	v_mov_b32_e32 v11, v15                                     // 000000027D7C: 7E16030F
	v_mul_f32_e32 v49, s64, v49                                // 000000027D80: 0A626240
	v_exp_f32_e32 v49, v49                                     // 000000027D84: 7E624131
	s_waitcnt lgkmcnt(0)                                       // 000000027D88: BF8CC07F
	s_barrier                                                  // 000000027D8C: BF8A0000
	ds_read_b32 v64, v7 offset:20992                           // 000000027D90: D86C5200 40000007
	ds_read_b32 v65, v7 offset:21056                           // 000000027D98: D86C5240 41000007
	ds_read_b32 v66, v7 offset:21120                           // 000000027DA0: D86C5280 42000007
	ds_read_b32 v67, v7 offset:21184                           // 000000027DA8: D86C52C0 43000007
	ds_read_b32 v68, v7 offset:21248                           // 000000027DB0: D86C5300 44000007
	ds_read_b32 v69, v7 offset:21312                           // 000000027DB8: D86C5340 45000007
	ds_read_b32 v70, v7 offset:21376                           // 000000027DC0: D86C5380 46000007
	ds_read_b32 v71, v7 offset:21440                           // 000000027DC8: D86C53C0 47000007
	ds_read_b32 v72, v7 offset:21504                           // 000000027DD0: D86C5400 48000007
	ds_read_b32 v73, v7 offset:21568                           // 000000027DD8: D86C5440 49000007
	ds_read_b32 v74, v7 offset:21632                           // 000000027DE0: D86C5480 4A000007
	ds_read_b32 v75, v7 offset:21696                           // 000000027DE8: D86C54C0 4B000007
	ds_read_b32 v76, v7 offset:21760                           // 000000027DF0: D86C5500 4C000007
	ds_read_b32 v77, v7 offset:21824                           // 000000027DF8: D86C5540 4D000007
	ds_read_b32 v78, v7 offset:21888                           // 000000027E00: D86C5580 4E000007
	ds_read_b32 v79, v7 offset:21952                           // 000000027E08: D86C55C0 4F000007
	v_mul_f32_e32 v38, v49, v38                                // 000000027E10: 0A4C4D31
	v_mov_b32_e32 v15, v112                                    // 000000027E14: 7E1E0370
	v_add_f32_e32 v15, v113, v15                               // 000000027E18: 021E1F71
	v_add_f32_e32 v15, v114, v15                               // 000000027E1C: 021E1F72
	v_add_f32_e32 v15, v115, v15                               // 000000027E20: 021E1F73
	v_add_f32_e32 v15, v116, v15                               // 000000027E24: 021E1F74
	v_add_f32_e32 v15, v117, v15                               // 000000027E28: 021E1F75
	v_add_f32_e32 v15, v118, v15                               // 000000027E2C: 021E1F76
	v_add_f32_e32 v15, v119, v15                               // 000000027E30: 021E1F77
	v_add_f32_e32 v15, v120, v15                               // 000000027E34: 021E1F78
	v_add_f32_e32 v15, v121, v15                               // 000000027E38: 021E1F79
	v_add_f32_e32 v15, v122, v15                               // 000000027E3C: 021E1F7A
	v_add_f32_e32 v15, v123, v15                               // 000000027E40: 021E1F7B
	v_add_f32_e32 v15, v124, v15                               // 000000027E44: 021E1F7C
	v_add_f32_e32 v15, v125, v15                               // 000000027E48: 021E1F7D
	v_add_f32_e32 v15, v126, v15                               // 000000027E4C: 021E1F7E
	v_add_f32_e32 v15, v127, v15                               // 000000027E50: 021E1F7F
	v_add_f32_e32 v38, v15, v38                                // 000000027E54: 024C4D0F
	s_waitcnt lgkmcnt(0)                                       // 000000027E58: BF8CC07F
	v_max3_f32 v48, |v64|, |v65|, v48                          // 000000027E5C: D1D30330 04C28340
	v_max3_f32 v48, |v66|, |v67|, v48                          // 000000027E64: D1D30330 04C28742
	v_max3_f32 v48, |v68|, |v69|, v48                          // 000000027E6C: D1D30330 04C28B44
	v_max3_f32 v48, |v70|, |v71|, v48                          // 000000027E74: D1D30330 04C28F46
	v_max3_f32 v48, |v72|, |v73|, v48                          // 000000027E7C: D1D30330 04C29348
	v_max3_f32 v48, |v74|, |v75|, v48                          // 000000027E84: D1D30330 04C2974A
	v_max3_f32 v48, |v76|, |v77|, v48                          // 000000027E8C: D1D30330 04C29B4C
	v_max3_f32 v48, |v78|, |v79|, v48                          // 000000027E94: D1D30330 04C29F4E
	s_nop 2                                                    // 000000027E9C: BF800002
	v_rcp_f32_e32 v48, v48                                     // 000000027EA0: 7E604530
	s_nop 1                                                    // 000000027EA4: BF800001
	v_mul_f32_e32 v48, 0x42fe0000, v48                         // 000000027EA8: 0A6060FF 42FE0000
	v_mul_f32_e32 v112, v48, v240                              // 000000027EB0: 0AE1E130
	v_mul_f32_e32 v113, v48, v241                              // 000000027EB4: 0AE3E330
	v_mul_f32_e32 v114, v48, v242                              // 000000027EB8: 0AE5E530
	v_mul_f32_e32 v115, v48, v243                              // 000000027EBC: 0AE7E730
	v_mul_f32_e32 v116, v48, v244                              // 000000027EC0: 0AE9E930
	v_mul_f32_e32 v117, v48, v245                              // 000000027EC4: 0AEBEB30
	v_mul_f32_e32 v118, v48, v246                              // 000000027EC8: 0AEDED30
	v_mul_f32_e32 v119, v48, v247                              // 000000027ECC: 0AEFEF30
	v_mul_f32_e32 v120, v48, v248                              // 000000027ED0: 0AF1F130
	v_mul_f32_e32 v121, v48, v249                              // 000000027ED4: 0AF3F330
	v_mul_f32_e32 v122, v48, v250                              // 000000027ED8: 0AF5F530
	v_mul_f32_e32 v123, v48, v251                              // 000000027EDC: 0AF7F730
	v_mul_f32_e32 v124, v48, v252                              // 000000027EE0: 0AF9F930
	v_mul_f32_e32 v125, v48, v253                              // 000000027EE4: 0AFBFB30
	v_mul_f32_e32 v126, v48, v254                              // 000000027EE8: 0AFDFD30
	v_mul_f32_e32 v127, v48, v255                              // 000000027EEC: 0AFFFF30
	v_cvt_i32_f32_e32 v112, v112                               // 000000027EF0: 7EE01170
	v_cvt_i32_f32_e32 v113, v113                               // 000000027EF4: 7EE21171
	v_cvt_i32_f32_e32 v114, v114                               // 000000027EF8: 7EE41172
	v_cvt_i32_f32_e32 v115, v115                               // 000000027EFC: 7EE61173
	v_cvt_i32_f32_e32 v116, v116                               // 000000027F00: 7EE81174
	v_cvt_i32_f32_e32 v117, v117                               // 000000027F04: 7EEA1175
	v_cvt_i32_f32_e32 v118, v118                               // 000000027F08: 7EEC1176
	v_cvt_i32_f32_e32 v119, v119                               // 000000027F0C: 7EEE1177
	v_cvt_i32_f32_e32 v120, v120                               // 000000027F10: 7EF01178
	v_cvt_i32_f32_e32 v121, v121                               // 000000027F14: 7EF21179
	v_cvt_i32_f32_e32 v122, v122                               // 000000027F18: 7EF4117A
	v_cvt_i32_f32_e32 v123, v123                               // 000000027F1C: 7EF6117B
	v_cvt_i32_f32_e32 v124, v124                               // 000000027F20: 7EF8117C
	v_cvt_i32_f32_e32 v125, v125                               // 000000027F24: 7EFA117D
	v_cvt_i32_f32_e32 v126, v126                               // 000000027F28: 7EFC117E
	v_cvt_i32_f32_e32 v127, v127                               // 000000027F2C: 7EFE117F
	v_perm_b32 v112, v113, v112, s53                           // 000000027F30: D1ED0070 00D6E171
	v_perm_b32 v112, v114, v112, s54                           // 000000027F38: D1ED0070 00DAE172
	v_perm_b32 v112, v115, v112, s55                           // 000000027F40: D1ED0070 00DEE173
	v_perm_b32 v113, v117, v116, s53                           // 000000027F48: D1ED0071 00D6E975
	v_perm_b32 v113, v118, v113, s54                           // 000000027F50: D1ED0071 00DAE376
	v_perm_b32 v113, v119, v113, s55                           // 000000027F58: D1ED0071 00DEE377
	v_perm_b32 v114, v121, v120, s53                           // 000000027F60: D1ED0072 00D6F179
	v_perm_b32 v114, v122, v114, s54                           // 000000027F68: D1ED0072 00DAE57A
	v_perm_b32 v114, v123, v114, s55                           // 000000027F70: D1ED0072 00DEE57B
	v_perm_b32 v115, v125, v124, s53                           // 000000027F78: D1ED0073 00D6F97D
	v_perm_b32 v115, v126, v115, s54                           // 000000027F80: D1ED0073 00DAE77E
	v_perm_b32 v115, v127, v115, s55                           // 000000027F88: D1ED0073 00DEE77F
	ds_write_b32 v10, v112 offset:25088                        // 000000027F90: D81A6200 0000700A
	ds_write_b32 v10, v113 offset:26112                        // 000000027F98: D81A6600 0000710A
	ds_write_b32 v10, v114 offset:27136                        // 000000027FA0: D81A6A00 0000720A
	ds_write_b32 v10, v115 offset:28160                        // 000000027FA8: D81A6E00 0000730A
	v_add_f32_e32 v208, v208, v176                             // 000000027FB0: 03A161D0
	v_add_f32_e32 v209, v209, v177                             // 000000027FB4: 03A363D1
	v_add_f32_e32 v210, v210, v178                             // 000000027FB8: 03A565D2
	v_add_f32_e32 v211, v211, v179                             // 000000027FBC: 03A767D3
	v_add_f32_e32 v212, v212, v180                             // 000000027FC0: 03A969D4
	v_add_f32_e32 v213, v213, v181                             // 000000027FC4: 03AB6BD5
	v_add_f32_e32 v214, v214, v182                             // 000000027FC8: 03AD6DD6
	v_add_f32_e32 v215, v215, v183                             // 000000027FCC: 03AF6FD7
	v_rcp_f32_e32 v44, v48                                     // 000000027FD0: 7E584530
	s_waitcnt lgkmcnt(0)                                       // 000000027FD4: BF8CC07F
	s_barrier                                                  // 000000027FD8: BF8A0000
	ds_read_b64 v[112:113], v9 offset:25088                    // 000000027FDC: D8EC6200 70000009
	ds_read_b64 v[114:115], v9 offset:25216                    // 000000027FE4: D8EC6280 72000009
	ds_read_b64 v[116:117], v9 offset:26112                    // 000000027FEC: D8EC6600 74000009
	ds_read_b64 v[118:119], v9 offset:26240                    // 000000027FF4: D8EC6680 76000009
	ds_read_b64 v[120:121], v9 offset:27136                    // 000000027FFC: D8EC6A00 78000009
	ds_read_b64 v[122:123], v9 offset:27264                    // 000000028004: D8EC6A80 7A000009
	ds_read_b64 v[124:125], v9 offset:28160                    // 00000002800C: D8EC6E00 7C000009
	ds_read_b64 v[126:127], v9 offset:28288                    // 000000028014: D8EC6E80 7E000009
	v_mov_b32_dpp v64, v43 row_shr:4 row_mask:0xf bank_mask:0xf// 00000002801C: 7E8002FA FF01142B
	v_mov_b32_dpp v65, v43 row_shl:4 row_mask:0xf bank_mask:0xf// 000000028024: 7E8202FA FF01042B
	v_cndmask_b32_e64 v248, v43, v64, s[44:45]                 // 00000002802C: D10000F8 00B2812B
	v_cndmask_b32_e64 v249, v65, v43, s[44:45]                 // 000000028034: D10000F9 00B25741
	v_mov_b32_dpp v64, v248 row_shr:8 row_mask:0xf bank_mask:0xf// 00000002803C: 7E8002FA FF0118F8
	v_mov_b32_dpp v65, v248 row_shl:8 row_mask:0xf bank_mask:0xf// 000000028044: 7E8202FA FF0108F8
	v_mov_b32_dpp v66, v249 row_shr:8 row_mask:0xf bank_mask:0xf// 00000002804C: 7E8402FA FF0118F9
	v_mov_b32_dpp v67, v249 row_shl:8 row_mask:0xf bank_mask:0xf// 000000028054: 7E8602FA FF0108F9
	v_mov_b32_e32 v68, v248                                    // 00000002805C: 7E8803F8
	v_mov_b32_e32 v69, v249                                    // 000000028060: 7E8A03F9
	v_cndmask_b32_e64 v248, v68, v64, s[42:43]                 // 000000028064: D10000F8 00AA8144
	v_cndmask_b32_e64 v250, v68, v65, s[78:79]                 // 00000002806C: D10000FA 013A8344
	v_cndmask_b32_e64 v249, v69, v66, s[42:43]                 // 000000028074: D10000F9 00AA8545
	v_cndmask_b32_e64 v251, v69, v67, s[78:79]                 // 00000002807C: D10000FB 013A8745
	v_mov_b32_dpp v64, v58 row_shr:4 row_mask:0xf bank_mask:0xf// 000000028084: 7E8002FA FF01143A
	v_mov_b32_dpp v65, v58 row_shl:4 row_mask:0xf bank_mask:0xf// 00000002808C: 7E8202FA FF01043A
	v_cndmask_b32_e64 v252, v58, v64, s[44:45]                 // 000000028094: D10000FC 00B2813A
	v_cndmask_b32_e64 v253, v65, v58, s[44:45]                 // 00000002809C: D10000FD 00B27541
	v_mov_b32_dpp v64, v252 row_shr:8 row_mask:0xf bank_mask:0xf// 0000000280A4: 7E8002FA FF0118FC
	v_mov_b32_dpp v65, v252 row_shl:8 row_mask:0xf bank_mask:0xf// 0000000280AC: 7E8202FA FF0108FC
	v_mov_b32_dpp v66, v253 row_shr:8 row_mask:0xf bank_mask:0xf// 0000000280B4: 7E8402FA FF0118FD
	v_mov_b32_dpp v67, v253 row_shl:8 row_mask:0xf bank_mask:0xf// 0000000280BC: 7E8602FA FF0108FD
	v_mov_b32_e32 v68, v252                                    // 0000000280C4: 7E8803FC
	v_mov_b32_e32 v69, v253                                    // 0000000280C8: 7E8A03FD
	v_cndmask_b32_e64 v252, v68, v64, s[42:43]                 // 0000000280CC: D10000FC 00AA8144
	v_cndmask_b32_e64 v254, v68, v65, s[78:79]                 // 0000000280D4: D10000FE 013A8344
	v_cndmask_b32_e64 v253, v69, v66, s[42:43]                 // 0000000280DC: D10000FD 00AA8545
	v_cndmask_b32_e64 v255, v69, v67, s[78:79]                 // 0000000280E4: D10000FF 013A8745
	v_cvt_f32_i32_e32 v128, v128                               // 0000000280EC: 7F000B80
	v_cvt_f32_i32_e32 v129, v129                               // 0000000280F0: 7F020B81
	v_cvt_f32_i32_e32 v130, v130                               // 0000000280F4: 7F040B82
	v_cvt_f32_i32_e32 v131, v131                               // 0000000280F8: 7F060B83
	v_cvt_f32_i32_e32 v132, v132                               // 0000000280FC: 7F080B84
	v_cvt_f32_i32_e32 v133, v133                               // 000000028100: 7F0A0B85
	v_cvt_f32_i32_e32 v134, v134                               // 000000028104: 7F0C0B86
	v_cvt_f32_i32_e32 v135, v135                               // 000000028108: 7F0E0B87
	v_cvt_f32_i32_e32 v136, v136                               // 00000002810C: 7F100B88
	v_cvt_f32_i32_e32 v137, v137                               // 000000028110: 7F120B89
	v_cvt_f32_i32_e32 v138, v138                               // 000000028114: 7F140B8A
	v_cvt_f32_i32_e32 v139, v139                               // 000000028118: 7F160B8B
	v_cvt_f32_i32_e32 v140, v140                               // 00000002811C: 7F180B8C
	v_cvt_f32_i32_e32 v141, v141                               // 000000028120: 7F1A0B8D
	v_cvt_f32_i32_e32 v142, v142                               // 000000028124: 7F1C0B8E
	v_cvt_f32_i32_e32 v143, v143                               // 000000028128: 7F1E0B8F
	v_mul_f32_e32 v128, v19, v128                              // 00000002812C: 0B010113
	v_mul_f32_e32 v129, v19, v129                              // 000000028130: 0B030313
	v_mul_f32_e32 v130, v19, v130                              // 000000028134: 0B050513
	v_mul_f32_e32 v131, v19, v131                              // 000000028138: 0B070713
	v_mul_f32_e32 v132, v19, v132                              // 00000002813C: 0B090913
	v_mul_f32_e32 v133, v19, v133                              // 000000028140: 0B0B0B13
	v_mul_f32_e32 v134, v19, v134                              // 000000028144: 0B0D0D13
	v_mul_f32_e32 v135, v19, v135                              // 000000028148: 0B0F0F13
	v_mul_f32_e32 v136, v19, v136                              // 00000002814C: 0B111113
	v_mul_f32_e32 v137, v19, v137                              // 000000028150: 0B131313
	v_mul_f32_e32 v138, v19, v138                              // 000000028154: 0B151513
	v_mul_f32_e32 v139, v19, v139                              // 000000028158: 0B171713
	v_mul_f32_e32 v140, v19, v140                              // 00000002815C: 0B191913
	v_mul_f32_e32 v141, v19, v141                              // 000000028160: 0B1B1B13
	v_mul_f32_e32 v142, v19, v142                              // 000000028164: 0B1D1D13
	v_mul_f32_e32 v143, v19, v143                              // 000000028168: 0B1F1F13
	v_mul_f32_dpp v128, v248, v128 quad_perm:[0,0,0,0] row_mask:0xf bank_mask:0xf// 00000002816C: 0B0100FA FF0000F8
	v_mul_f32_dpp v129, v248, v129 quad_perm:[1,1,1,1] row_mask:0xf bank_mask:0xf// 000000028174: 0B0302FA FF0055F8
	v_mul_f32_dpp v130, v248, v130 quad_perm:[2,2,2,2] row_mask:0xf bank_mask:0xf// 00000002817C: 0B0504FA FF00AAF8
	v_mul_f32_dpp v131, v248, v131 quad_perm:[3,3,3,3] row_mask:0xf bank_mask:0xf// 000000028184: 0B0706FA FF00FFF8
	v_mul_f32_dpp v132, v249, v132 quad_perm:[0,0,0,0] row_mask:0xf bank_mask:0xf// 00000002818C: 0B0908FA FF0000F9
	v_mul_f32_dpp v133, v249, v133 quad_perm:[1,1,1,1] row_mask:0xf bank_mask:0xf// 000000028194: 0B0B0AFA FF0055F9
	v_mul_f32_dpp v134, v249, v134 quad_perm:[2,2,2,2] row_mask:0xf bank_mask:0xf// 00000002819C: 0B0D0CFA FF00AAF9
	v_mul_f32_dpp v135, v249, v135 quad_perm:[3,3,3,3] row_mask:0xf bank_mask:0xf// 0000000281A4: 0B0F0EFA FF00FFF9
	v_mul_f32_dpp v136, v250, v136 quad_perm:[0,0,0,0] row_mask:0xf bank_mask:0xf// 0000000281AC: 0B1110FA FF0000FA
	v_mul_f32_dpp v137, v250, v137 quad_perm:[1,1,1,1] row_mask:0xf bank_mask:0xf// 0000000281B4: 0B1312FA FF0055FA
	v_mul_f32_dpp v138, v250, v138 quad_perm:[2,2,2,2] row_mask:0xf bank_mask:0xf// 0000000281BC: 0B1514FA FF00AAFA
	v_mul_f32_dpp v139, v250, v139 quad_perm:[3,3,3,3] row_mask:0xf bank_mask:0xf// 0000000281C4: 0B1716FA FF00FFFA
	v_mul_f32_dpp v140, v251, v140 quad_perm:[0,0,0,0] row_mask:0xf bank_mask:0xf// 0000000281CC: 0B1918FA FF0000FB
	v_mul_f32_dpp v141, v251, v141 quad_perm:[1,1,1,1] row_mask:0xf bank_mask:0xf// 0000000281D4: 0B1B1AFA FF0055FB
	v_mul_f32_dpp v142, v251, v142 quad_perm:[2,2,2,2] row_mask:0xf bank_mask:0xf// 0000000281DC: 0B1D1CFA FF00AAFB
	v_mul_f32_dpp v143, v251, v143 quad_perm:[3,3,3,3] row_mask:0xf bank_mask:0xf// 0000000281E4: 0B1F1EFA FF00FFFB
	s_and_b32 s60, s72, 0xff                                   // 0000000281EC: 863CFF48 000000FF
	v_mov_b32_e32 v65, s60                                     // 0000000281F4: 7E82023C
	v_lshrrev_b32_e32 v240, 4, v0                              // 0000000281F8: 21E00084
	v_mul_i32_i24_e32 v240, 4, v240                            // 0000000281FC: 0DE1E084
	s_mul_i32 s60, s7, 16                                      // 000000028200: 923C9007
	v_add_u32_e32 v240, s60, v240                              // 000000028204: 69E1E03C
	v_add_u32_e32 v241, 1, v240                                // 000000028208: 69E3E081
	v_add_u32_e32 v242, 2, v240                                // 00000002820C: 69E5E082
	v_add_u32_e32 v243, 3, v240                                // 000000028210: 69E7E083
	v_mov_b32_e32 v64, 0xff800000                              // 000000028214: 7E8002FF FF800000
	v_cmp_lt_u32_e64 s[40:41], v240, v65                       // 00000002821C: D0C90028 000283F0
	v_add_u32_e32 v240, 64, v240                               // 000000028224: 69E1E0C0
	s_nop 0                                                    // 000000028228: BF800000
	v_cndmask_b32_e64 v128, v64, v128, s[40:41]                // 00000002822C: D1000080 00A30140
	v_cmp_lt_u32_e64 s[40:41], v241, v65                       // 000000028234: D0C90028 000283F1
	v_add_u32_e32 v241, 64, v241                               // 00000002823C: 69E3E2C0
	s_nop 0                                                    // 000000028240: BF800000
	v_cndmask_b32_e64 v129, v64, v129, s[40:41]                // 000000028244: D1000081 00A30340
	v_cmp_lt_u32_e64 s[40:41], v242, v65                       // 00000002824C: D0C90028 000283F2
	v_add_u32_e32 v242, 64, v242                               // 000000028254: 69E5E4C0
	s_nop 0                                                    // 000000028258: BF800000
	v_cndmask_b32_e64 v130, v64, v130, s[40:41]                // 00000002825C: D1000082 00A30540
	v_cmp_lt_u32_e64 s[40:41], v243, v65                       // 000000028264: D0C90028 000283F3
	v_add_u32_e32 v243, 64, v243                               // 00000002826C: 69E7E6C0
	s_nop 0                                                    // 000000028270: BF800000
	v_cndmask_b32_e64 v131, v64, v131, s[40:41]                // 000000028274: D1000083 00A30740
	v_cmp_lt_u32_e64 s[40:41], v240, v65                       // 00000002827C: D0C90028 000283F0
	v_add_u32_e32 v240, 64, v240                               // 000000028284: 69E1E0C0
	s_nop 0                                                    // 000000028288: BF800000
	v_cndmask_b32_e64 v132, v64, v132, s[40:41]                // 00000002828C: D1000084 00A30940
	v_cmp_lt_u32_e64 s[40:41], v241, v65                       // 000000028294: D0C90028 000283F1
	v_add_u32_e32 v241, 64, v241                               // 00000002829C: 69E3E2C0
	s_nop 0                                                    // 0000000282A0: BF800000
	v_cndmask_b32_e64 v133, v64, v133, s[40:41]                // 0000000282A4: D1000085 00A30B40
	v_cmp_lt_u32_e64 s[40:41], v242, v65                       // 0000000282AC: D0C90028 000283F2
	v_add_u32_e32 v242, 64, v242                               // 0000000282B4: 69E5E4C0
	s_nop 0                                                    // 0000000282B8: BF800000
	v_cndmask_b32_e64 v134, v64, v134, s[40:41]                // 0000000282BC: D1000086 00A30D40
	v_cmp_lt_u32_e64 s[40:41], v243, v65                       // 0000000282C4: D0C90028 000283F3
	v_add_u32_e32 v243, 64, v243                               // 0000000282CC: 69E7E6C0
	s_nop 0                                                    // 0000000282D0: BF800000
	v_cndmask_b32_e64 v135, v64, v135, s[40:41]                // 0000000282D4: D1000087 00A30F40
	v_cmp_lt_u32_e64 s[40:41], v240, v65                       // 0000000282DC: D0C90028 000283F0
	v_add_u32_e32 v240, 64, v240                               // 0000000282E4: 69E1E0C0
	s_nop 0                                                    // 0000000282E8: BF800000
	v_cndmask_b32_e64 v136, v64, v136, s[40:41]                // 0000000282EC: D1000088 00A31140
	v_cmp_lt_u32_e64 s[40:41], v241, v65                       // 0000000282F4: D0C90028 000283F1
	v_add_u32_e32 v241, 64, v241                               // 0000000282FC: 69E3E2C0
	s_nop 0                                                    // 000000028300: BF800000
	v_cndmask_b32_e64 v137, v64, v137, s[40:41]                // 000000028304: D1000089 00A31340
	v_cmp_lt_u32_e64 s[40:41], v242, v65                       // 00000002830C: D0C90028 000283F2
	v_add_u32_e32 v242, 64, v242                               // 000000028314: 69E5E4C0
	s_nop 0                                                    // 000000028318: BF800000
	v_cndmask_b32_e64 v138, v64, v138, s[40:41]                // 00000002831C: D100008A 00A31540
	v_cmp_lt_u32_e64 s[40:41], v243, v65                       // 000000028324: D0C90028 000283F3
	v_add_u32_e32 v243, 64, v243                               // 00000002832C: 69E7E6C0
	s_nop 0                                                    // 000000028330: BF800000
	v_cndmask_b32_e64 v139, v64, v139, s[40:41]                // 000000028334: D100008B 00A31740
	v_cmp_lt_u32_e64 s[40:41], v240, v65                       // 00000002833C: D0C90028 000283F0
	v_add_u32_e32 v240, 64, v240                               // 000000028344: 69E1E0C0
	s_nop 0                                                    // 000000028348: BF800000
	v_cndmask_b32_e64 v140, v64, v140, s[40:41]                // 00000002834C: D100008C 00A31940
	v_cmp_lt_u32_e64 s[40:41], v241, v65                       // 000000028354: D0C90028 000283F1
	v_add_u32_e32 v241, 64, v241                               // 00000002835C: 69E3E2C0
	s_nop 0                                                    // 000000028360: BF800000
	v_cndmask_b32_e64 v141, v64, v141, s[40:41]                // 000000028364: D100008D 00A31B40
	v_cmp_lt_u32_e64 s[40:41], v242, v65                       // 00000002836C: D0C90028 000283F2
	v_add_u32_e32 v242, 64, v242                               // 000000028374: 69E5E4C0
	s_nop 0                                                    // 000000028378: BF800000
	v_cndmask_b32_e64 v142, v64, v142, s[40:41]                // 00000002837C: D100008E 00A31D40
	v_cmp_lt_u32_e64 s[40:41], v243, v65                       // 000000028384: D0C90028 000283F3
	v_add_u32_e32 v243, 64, v243                               // 00000002838C: 69E7E6C0
	s_nop 0                                                    // 000000028390: BF800000
	v_cndmask_b32_e64 v143, v64, v143, s[40:41]                // 000000028394: D100008F 00A31F40
	v_mov_b32_e32 v48, v128                                    // 00000002839C: 7E600380
	v_max3_f32 v48, v128, v129, v48                            // 0000000283A0: D1D30030 04C30380
	v_max3_f32 v48, v130, v131, v48                            // 0000000283A8: D1D30030 04C30782
	v_max3_f32 v48, v132, v133, v48                            // 0000000283B0: D1D30030 04C30B84
	v_max3_f32 v48, v134, v135, v48                            // 0000000283B8: D1D30030 04C30F86
	v_max3_f32 v48, v136, v137, v48                            // 0000000283C0: D1D30030 04C31388
	v_max3_f32 v48, v138, v139, v48                            // 0000000283C8: D1D30030 04C3178A
	v_max3_f32 v48, v140, v141, v48                            // 0000000283D0: D1D30030 04C31B8C
	v_max3_f32 v48, v142, v143, v48                            // 0000000283D8: D1D30030 04C31F8E
	ds_write_b32 v8, v48 offset:16896                          // 0000000283E0: D81A4200 00003008
	v_mul_f32_e32 v216, v50, v216                              // 0000000283E8: 0BB1B132
	v_mul_f32_e32 v217, v50, v217                              // 0000000283EC: 0BB3B332
	v_mul_f32_e32 v218, v50, v218                              // 0000000283F0: 0BB5B532
	v_mul_f32_e32 v219, v50, v219                              // 0000000283F4: 0BB7B732
	v_mul_f32_e32 v220, v50, v220                              // 0000000283F8: 0BB9B932
	v_mul_f32_e32 v221, v50, v221                              // 0000000283FC: 0BBBBB32
	v_mul_f32_e32 v222, v50, v222                              // 000000028400: 0BBDBD32
	v_mul_f32_e32 v223, v50, v223                              // 000000028404: 0BBFBF32
	s_waitcnt lgkmcnt(0)                                       // 000000028408: BF8CC07F
	s_barrier                                                  // 00000002840C: BF8A0000
	ds_read_b32 v64, v7 offset:16896                           // 000000028410: D86C4200 40000007
	ds_read_b32 v65, v7 offset:16960                           // 000000028418: D86C4240 41000007
	ds_read_b32 v66, v7 offset:17024                           // 000000028420: D86C4280 42000007
	ds_read_b32 v67, v7 offset:17088                           // 000000028428: D86C42C0 43000007
	ds_read_b32 v68, v7 offset:17152                           // 000000028430: D86C4300 44000007
	ds_read_b32 v69, v7 offset:17216                           // 000000028438: D86C4340 45000007
	ds_read_b32 v70, v7 offset:17280                           // 000000028440: D86C4380 46000007
	ds_read_b32 v71, v7 offset:17344                           // 000000028448: D86C43C0 47000007
	ds_read_b32 v72, v7 offset:17408                           // 000000028450: D86C4400 48000007
	ds_read_b32 v73, v7 offset:17472                           // 000000028458: D86C4440 49000007
	ds_read_b32 v74, v7 offset:17536                           // 000000028460: D86C4480 4A000007
	ds_read_b32 v75, v7 offset:17600                           // 000000028468: D86C44C0 4B000007
	ds_read_b32 v76, v7 offset:17664                           // 000000028470: D86C4500 4C000007
	ds_read_b32 v77, v7 offset:17728                           // 000000028478: D86C4540 4D000007
	ds_read_b32 v78, v7 offset:17792                           // 000000028480: D86C4580 4E000007
	ds_read_b32 v79, v7 offset:17856                           // 000000028488: D86C45C0 4F000007
	v_cvt_f32_i32_e32 v184, v184                               // 000000028490: 7F700BB8
	v_cvt_f32_i32_e32 v185, v185                               // 000000028494: 7F720BB9
	v_cvt_f32_i32_e32 v186, v186                               // 000000028498: 7F740BBA
	v_cvt_f32_i32_e32 v187, v187                               // 00000002849C: 7F760BBB
	v_cvt_f32_i32_e32 v188, v188                               // 0000000284A0: 7F780BBC
	v_cvt_f32_i32_e32 v189, v189                               // 0000000284A4: 7F7A0BBD
	v_cvt_f32_i32_e32 v190, v190                               // 0000000284A8: 7F7C0BBE
	v_cvt_f32_i32_e32 v191, v191                               // 0000000284AC: 7F7E0BBF
	v_mul_f32_e32 v184, v45, v184                              // 0000000284B0: 0B71712D
	v_mul_f32_e32 v185, v45, v185                              // 0000000284B4: 0B73732D
	v_mul_f32_e32 v186, v45, v186                              // 0000000284B8: 0B75752D
	v_mul_f32_e32 v187, v45, v187                              // 0000000284BC: 0B77772D
	v_mul_f32_e32 v188, v45, v188                              // 0000000284C0: 0B79792D
	v_mul_f32_e32 v189, v45, v189                              // 0000000284C4: 0B7B7B2D
	v_mul_f32_e32 v190, v45, v190                              // 0000000284C8: 0B7D7D2D
	v_mul_f32_e32 v191, v45, v191                              // 0000000284CC: 0B7F7F2D
	s_waitcnt lgkmcnt(0)                                       // 0000000284D0: BF8CC07F
	v_max3_f32 v48, v64, v65, v48                              // 0000000284D4: D1D30030 04C28340
	v_max3_f32 v48, v66, v67, v48                              // 0000000284DC: D1D30030 04C28742
	v_max3_f32 v48, v68, v69, v48                              // 0000000284E4: D1D30030 04C28B44
	v_max3_f32 v48, v70, v71, v48                              // 0000000284EC: D1D30030 04C28F46
	v_max3_f32 v48, v72, v73, v48                              // 0000000284F4: D1D30030 04C29348
	v_max3_f32 v48, v74, v75, v48                              // 0000000284FC: D1D30030 04C2974A
	v_max3_f32 v48, v76, v77, v48                              // 000000028504: D1D30030 04C29B4C
	v_max3_f32 v48, v78, v79, v48                              // 00000002850C: D1D30030 04C29F4E
	v_mov_b32_e32 v64, 0xff800000                              // 000000028514: 7E8002FF FF800000
	v_cmp_eq_u32_e64 s[40:41], v64, v12                        // 00000002851C: D0CA0028 00021940
	s_nop 1                                                    // 000000028524: BF800001
	v_max_f32_e32 v15, v48, v12                                // 000000028528: 161E1930
	v_mul_f32_e32 v53, s64, v15                                // 00000002852C: 0A6A1E40
	v_fma_f32 v128, v128, s64, -v53                            // 000000028530: D1CB0080 84D48180
	v_fma_f32 v129, v129, s64, -v53                            // 000000028538: D1CB0081 84D48181
	v_fma_f32 v130, v130, s64, -v53                            // 000000028540: D1CB0082 84D48182
	v_fma_f32 v131, v131, s64, -v53                            // 000000028548: D1CB0083 84D48183
	v_fma_f32 v132, v132, s64, -v53                            // 000000028550: D1CB0084 84D48184
	v_fma_f32 v133, v133, s64, -v53                            // 000000028558: D1CB0085 84D48185
	v_fma_f32 v134, v134, s64, -v53                            // 000000028560: D1CB0086 84D48186
	v_fma_f32 v135, v135, s64, -v53                            // 000000028568: D1CB0087 84D48187
	v_fma_f32 v136, v136, s64, -v53                            // 000000028570: D1CB0088 84D48188
	v_fma_f32 v137, v137, s64, -v53                            // 000000028578: D1CB0089 84D48189
	v_fma_f32 v138, v138, s64, -v53                            // 000000028580: D1CB008A 84D4818A
	v_fma_f32 v139, v139, s64, -v53                            // 000000028588: D1CB008B 84D4818B
	v_fma_f32 v140, v140, s64, -v53                            // 000000028590: D1CB008C 84D4818C
	v_fma_f32 v141, v141, s64, -v53                            // 000000028598: D1CB008D 84D4818D
	v_fma_f32 v142, v142, s64, -v53                            // 0000000285A0: D1CB008E 84D4818E
	v_fma_f32 v143, v143, s64, -v53                            // 0000000285A8: D1CB008F 84D4818F
	v_exp_f32_e32 v128, v128                                   // 0000000285B0: 7F004180
	v_exp_f32_e32 v129, v129                                   // 0000000285B4: 7F024181
	v_exp_f32_e32 v130, v130                                   // 0000000285B8: 7F044182
	v_exp_f32_e32 v131, v131                                   // 0000000285BC: 7F064183
	v_exp_f32_e32 v132, v132                                   // 0000000285C0: 7F084184
	v_exp_f32_e32 v133, v133                                   // 0000000285C4: 7F0A4185
	v_exp_f32_e32 v134, v134                                   // 0000000285C8: 7F0C4186
	v_exp_f32_e32 v135, v135                                   // 0000000285CC: 7F0E4187
	v_exp_f32_e32 v136, v136                                   // 0000000285D0: 7F104188
	v_exp_f32_e32 v137, v137                                   // 0000000285D4: 7F124189
	v_exp_f32_e32 v138, v138                                   // 0000000285D8: 7F14418A
	v_exp_f32_e32 v139, v139                                   // 0000000285DC: 7F16418B
	v_exp_f32_e32 v140, v140                                   // 0000000285E0: 7F18418C
	v_exp_f32_e32 v141, v141                                   // 0000000285E4: 7F1A418D
	v_exp_f32_e32 v142, v142                                   // 0000000285E8: 7F1C418E
	v_exp_f32_e32 v143, v143                                   // 0000000285EC: 7F1E418F
	v_mul_f32_dpp v240, v252, v128 quad_perm:[0,0,0,0] row_mask:0xf bank_mask:0xf// 0000000285F0: 0BE100FA FF0000FC
	v_mul_f32_dpp v241, v252, v129 quad_perm:[1,1,1,1] row_mask:0xf bank_mask:0xf// 0000000285F8: 0BE302FA FF0055FC
	v_mul_f32_dpp v242, v252, v130 quad_perm:[2,2,2,2] row_mask:0xf bank_mask:0xf// 000000028600: 0BE504FA FF00AAFC
	v_mul_f32_dpp v243, v252, v131 quad_perm:[3,3,3,3] row_mask:0xf bank_mask:0xf// 000000028608: 0BE706FA FF00FFFC
	v_mul_f32_dpp v244, v253, v132 quad_perm:[0,0,0,0] row_mask:0xf bank_mask:0xf// 000000028610: 0BE908FA FF0000FD
	v_mul_f32_dpp v245, v253, v133 quad_perm:[1,1,1,1] row_mask:0xf bank_mask:0xf// 000000028618: 0BEB0AFA FF0055FD
	v_mul_f32_dpp v246, v253, v134 quad_perm:[2,2,2,2] row_mask:0xf bank_mask:0xf// 000000028620: 0BED0CFA FF00AAFD
	v_mul_f32_dpp v247, v253, v135 quad_perm:[3,3,3,3] row_mask:0xf bank_mask:0xf// 000000028628: 0BEF0EFA FF00FFFD
	v_mul_f32_dpp v248, v254, v136 quad_perm:[0,0,0,0] row_mask:0xf bank_mask:0xf// 000000028630: 0BF110FA FF0000FE
	v_mul_f32_dpp v249, v254, v137 quad_perm:[1,1,1,1] row_mask:0xf bank_mask:0xf// 000000028638: 0BF312FA FF0055FE
	v_mul_f32_dpp v250, v254, v138 quad_perm:[2,2,2,2] row_mask:0xf bank_mask:0xf// 000000028640: 0BF514FA FF00AAFE
	v_mul_f32_dpp v251, v254, v139 quad_perm:[3,3,3,3] row_mask:0xf bank_mask:0xf// 000000028648: 0BF716FA FF00FFFE
	v_mul_f32_dpp v252, v255, v140 quad_perm:[0,0,0,0] row_mask:0xf bank_mask:0xf// 000000028650: 0BF918FA FF0000FF
	v_mul_f32_dpp v253, v255, v141 quad_perm:[1,1,1,1] row_mask:0xf bank_mask:0xf// 000000028658: 0BFB1AFA FF0055FF
	v_mul_f32_dpp v254, v255, v142 quad_perm:[2,2,2,2] row_mask:0xf bank_mask:0xf// 000000028660: 0BFD1CFA FF00AAFF
	v_mul_f32_dpp v255, v255, v143 quad_perm:[3,3,3,3] row_mask:0xf bank_mask:0xf// 000000028668: 0BFF1EFA FF00FFFF
	v_mov_b32_e32 v48, 0x358637bd                              // 000000028670: 7E6002FF 358637BD
	v_max3_f32 v48, |v240|, |v241|, v48                        // 000000028678: D1D30330 04C3E3F0
	v_max3_f32 v48, |v242|, |v243|, v48                        // 000000028680: D1D30330 04C3E7F2
	v_max3_f32 v48, |v244|, |v245|, v48                        // 000000028688: D1D30330 04C3EBF4
	v_max3_f32 v48, |v246|, |v247|, v48                        // 000000028690: D1D30330 04C3EFF6
	v_max3_f32 v48, |v248|, |v249|, v48                        // 000000028698: D1D30330 04C3F3F8
	v_max3_f32 v48, |v250|, |v251|, v48                        // 0000000286A0: D1D30330 04C3F7FA
	v_max3_f32 v48, |v252|, |v253|, v48                        // 0000000286A8: D1D30330 04C3FBFC
	v_max3_f32 v48, |v254|, |v255|, v48                        // 0000000286B0: D1D30330 04C3FFFE
	ds_write_b32 v8, v48 offset:20992                          // 0000000286B8: D81A5200 00003008
	v_sub_f32_e32 v50, v12, v15                                // 0000000286C0: 04641F0C
	v_cndmask_b32_e64 v50, v50, 0, s[40:41]                    // 0000000286C4: D1000032 00A10132
	v_mov_b32_e32 v12, v15                                     // 0000000286CC: 7E18030F
	v_mul_f32_e32 v50, s64, v50                                // 0000000286D0: 0A646440
	v_exp_f32_e32 v50, v50                                     // 0000000286D4: 7E644132
	s_waitcnt lgkmcnt(0)                                       // 0000000286D8: BF8CC07F
	s_barrier                                                  // 0000000286DC: BF8A0000
	ds_read_b32 v64, v7 offset:20992                           // 0000000286E0: D86C5200 40000007
	ds_read_b32 v65, v7 offset:21056                           // 0000000286E8: D86C5240 41000007
	ds_read_b32 v66, v7 offset:21120                           // 0000000286F0: D86C5280 42000007
	ds_read_b32 v67, v7 offset:21184                           // 0000000286F8: D86C52C0 43000007
	ds_read_b32 v68, v7 offset:21248                           // 000000028700: D86C5300 44000007
	ds_read_b32 v69, v7 offset:21312                           // 000000028708: D86C5340 45000007
	ds_read_b32 v70, v7 offset:21376                           // 000000028710: D86C5380 46000007
	ds_read_b32 v71, v7 offset:21440                           // 000000028718: D86C53C0 47000007
	ds_read_b32 v72, v7 offset:21504                           // 000000028720: D86C5400 48000007
	ds_read_b32 v73, v7 offset:21568                           // 000000028728: D86C5440 49000007
	ds_read_b32 v74, v7 offset:21632                           // 000000028730: D86C5480 4A000007
	ds_read_b32 v75, v7 offset:21696                           // 000000028738: D86C54C0 4B000007
	ds_read_b32 v76, v7 offset:21760                           // 000000028740: D86C5500 4C000007
	ds_read_b32 v77, v7 offset:21824                           // 000000028748: D86C5540 4D000007
	ds_read_b32 v78, v7 offset:21888                           // 000000028750: D86C5580 4E000007
	ds_read_b32 v79, v7 offset:21952                           // 000000028758: D86C55C0 4F000007
	v_mul_f32_e32 v39, v50, v39                                // 000000028760: 0A4E4F32
	v_mov_b32_e32 v15, v128                                    // 000000028764: 7E1E0380
	v_add_f32_e32 v15, v129, v15                               // 000000028768: 021E1F81
	v_add_f32_e32 v15, v130, v15                               // 00000002876C: 021E1F82
	v_add_f32_e32 v15, v131, v15                               // 000000028770: 021E1F83
	v_add_f32_e32 v15, v132, v15                               // 000000028774: 021E1F84
	v_add_f32_e32 v15, v133, v15                               // 000000028778: 021E1F85
	v_add_f32_e32 v15, v134, v15                               // 00000002877C: 021E1F86
	v_add_f32_e32 v15, v135, v15                               // 000000028780: 021E1F87
	v_add_f32_e32 v15, v136, v15                               // 000000028784: 021E1F88
	v_add_f32_e32 v15, v137, v15                               // 000000028788: 021E1F89
	v_add_f32_e32 v15, v138, v15                               // 00000002878C: 021E1F8A
	v_add_f32_e32 v15, v139, v15                               // 000000028790: 021E1F8B
	v_add_f32_e32 v15, v140, v15                               // 000000028794: 021E1F8C
	v_add_f32_e32 v15, v141, v15                               // 000000028798: 021E1F8D
	v_add_f32_e32 v15, v142, v15                               // 00000002879C: 021E1F8E
	v_add_f32_e32 v15, v143, v15                               // 0000000287A0: 021E1F8F
	v_add_f32_e32 v39, v15, v39                                // 0000000287A4: 024E4F0F
	s_waitcnt lgkmcnt(0)                                       // 0000000287A8: BF8CC07F
	v_max3_f32 v48, |v64|, |v65|, v48                          // 0000000287AC: D1D30330 04C28340
	v_max3_f32 v48, |v66|, |v67|, v48                          // 0000000287B4: D1D30330 04C28742
	v_max3_f32 v48, |v68|, |v69|, v48                          // 0000000287BC: D1D30330 04C28B44
	v_max3_f32 v48, |v70|, |v71|, v48                          // 0000000287C4: D1D30330 04C28F46
	v_max3_f32 v48, |v72|, |v73|, v48                          // 0000000287CC: D1D30330 04C29348
	v_max3_f32 v48, |v74|, |v75|, v48                          // 0000000287D4: D1D30330 04C2974A
	v_max3_f32 v48, |v76|, |v77|, v48                          // 0000000287DC: D1D30330 04C29B4C
	v_max3_f32 v48, |v78|, |v79|, v48                          // 0000000287E4: D1D30330 04C29F4E
	s_nop 2                                                    // 0000000287EC: BF800002
	v_rcp_f32_e32 v48, v48                                     // 0000000287F0: 7E604530
	s_nop 1                                                    // 0000000287F4: BF800001
	v_mul_f32_e32 v48, 0x42fe0000, v48                         // 0000000287F8: 0A6060FF 42FE0000
	v_mul_f32_e32 v128, v48, v240                              // 000000028800: 0B01E130
	v_mul_f32_e32 v129, v48, v241                              // 000000028804: 0B03E330
	v_mul_f32_e32 v130, v48, v242                              // 000000028808: 0B05E530
	v_mul_f32_e32 v131, v48, v243                              // 00000002880C: 0B07E730
	v_mul_f32_e32 v132, v48, v244                              // 000000028810: 0B09E930
	v_mul_f32_e32 v133, v48, v245                              // 000000028814: 0B0BEB30
	v_mul_f32_e32 v134, v48, v246                              // 000000028818: 0B0DED30
	v_mul_f32_e32 v135, v48, v247                              // 00000002881C: 0B0FEF30
	v_mul_f32_e32 v136, v48, v248                              // 000000028820: 0B11F130
	v_mul_f32_e32 v137, v48, v249                              // 000000028824: 0B13F330
	v_mul_f32_e32 v138, v48, v250                              // 000000028828: 0B15F530
	v_mul_f32_e32 v139, v48, v251                              // 00000002882C: 0B17F730
	v_mul_f32_e32 v140, v48, v252                              // 000000028830: 0B19F930
	v_mul_f32_e32 v141, v48, v253                              // 000000028834: 0B1BFB30
	v_mul_f32_e32 v142, v48, v254                              // 000000028838: 0B1DFD30
	v_mul_f32_e32 v143, v48, v255                              // 00000002883C: 0B1FFF30
	v_cvt_i32_f32_e32 v128, v128                               // 000000028840: 7F001180
	v_cvt_i32_f32_e32 v129, v129                               // 000000028844: 7F021181
	v_cvt_i32_f32_e32 v130, v130                               // 000000028848: 7F041182
	v_cvt_i32_f32_e32 v131, v131                               // 00000002884C: 7F061183
	v_cvt_i32_f32_e32 v132, v132                               // 000000028850: 7F081184
	v_cvt_i32_f32_e32 v133, v133                               // 000000028854: 7F0A1185
	v_cvt_i32_f32_e32 v134, v134                               // 000000028858: 7F0C1186
	v_cvt_i32_f32_e32 v135, v135                               // 00000002885C: 7F0E1187
	v_cvt_i32_f32_e32 v136, v136                               // 000000028860: 7F101188
	v_cvt_i32_f32_e32 v137, v137                               // 000000028864: 7F121189
	v_cvt_i32_f32_e32 v138, v138                               // 000000028868: 7F14118A
	v_cvt_i32_f32_e32 v139, v139                               // 00000002886C: 7F16118B
	v_cvt_i32_f32_e32 v140, v140                               // 000000028870: 7F18118C
	v_cvt_i32_f32_e32 v141, v141                               // 000000028874: 7F1A118D
	v_cvt_i32_f32_e32 v142, v142                               // 000000028878: 7F1C118E
	v_cvt_i32_f32_e32 v143, v143                               // 00000002887C: 7F1E118F
	v_perm_b32 v128, v129, v128, s53                           // 000000028880: D1ED0080 00D70181
	v_perm_b32 v128, v130, v128, s54                           // 000000028888: D1ED0080 00DB0182
	v_perm_b32 v128, v131, v128, s55                           // 000000028890: D1ED0080 00DF0183
	v_perm_b32 v129, v133, v132, s53                           // 000000028898: D1ED0081 00D70985
	v_perm_b32 v129, v134, v129, s54                           // 0000000288A0: D1ED0081 00DB0386
	v_perm_b32 v129, v135, v129, s55                           // 0000000288A8: D1ED0081 00DF0387
	v_perm_b32 v130, v137, v136, s53                           // 0000000288B0: D1ED0082 00D71189
	v_perm_b32 v130, v138, v130, s54                           // 0000000288B8: D1ED0082 00DB058A
	v_perm_b32 v130, v139, v130, s55                           // 0000000288C0: D1ED0082 00DF058B
	v_perm_b32 v131, v141, v140, s53                           // 0000000288C8: D1ED0083 00D7198D
	v_perm_b32 v131, v142, v131, s54                           // 0000000288D0: D1ED0083 00DB078E
	v_perm_b32 v131, v143, v131, s55                           // 0000000288D8: D1ED0083 00DF078F
	ds_write_b32 v10, v128 offset:29184                        // 0000000288E0: D81A7200 0000800A
	ds_write_b32 v10, v129 offset:30208                        // 0000000288E8: D81A7600 0000810A
	ds_write_b32 v10, v130 offset:31232                        // 0000000288F0: D81A7A00 0000820A
	ds_write_b32 v10, v131 offset:32256                        // 0000000288F8: D81A7E00 0000830A
	v_add_f32_e32 v216, v216, v184                             // 000000028900: 03B171D8
	v_add_f32_e32 v217, v217, v185                             // 000000028904: 03B373D9
	v_add_f32_e32 v218, v218, v186                             // 000000028908: 03B575DA
	v_add_f32_e32 v219, v219, v187                             // 00000002890C: 03B777DB
	v_add_f32_e32 v220, v220, v188                             // 000000028910: 03B979DC
	v_add_f32_e32 v221, v221, v189                             // 000000028914: 03BB7BDD
	v_add_f32_e32 v222, v222, v190                             // 000000028918: 03BD7DDE
	v_add_f32_e32 v223, v223, v191                             // 00000002891C: 03BF7FDF
	v_rcp_f32_e32 v45, v48                                     // 000000028920: 7E5A4530
	s_waitcnt lgkmcnt(0)                                       // 000000028924: BF8CC07F
	s_barrier                                                  // 000000028928: BF8A0000
	ds_read_b64 v[128:129], v9 offset:29184                    // 00000002892C: D8EC7200 80000009
	ds_read_b64 v[130:131], v9 offset:29312                    // 000000028934: D8EC7280 82000009
	ds_read_b64 v[132:133], v9 offset:30208                    // 00000002893C: D8EC7600 84000009
	ds_read_b64 v[134:135], v9 offset:30336                    // 000000028944: D8EC7680 86000009
	ds_read_b64 v[136:137], v9 offset:31232                    // 00000002894C: D8EC7A00 88000009
	ds_read_b64 v[138:139], v9 offset:31360                    // 000000028954: D8EC7A80 8A000009
	ds_read_b64 v[140:141], v9 offset:32256                    // 00000002895C: D8EC7E00 8C000009
	ds_read_b64 v[142:143], v9 offset:32384                    // 000000028964: D8EC7E80 8E000009
	v_mov_b32_dpp v64, v43 row_shr:4 row_mask:0xf bank_mask:0xf// 00000002896C: 7E8002FA FF01142B
	v_mov_b32_dpp v65, v43 row_shl:4 row_mask:0xf bank_mask:0xf// 000000028974: 7E8202FA FF01042B
	v_cndmask_b32_e64 v248, v43, v64, s[44:45]                 // 00000002897C: D10000F8 00B2812B
	v_cndmask_b32_e64 v249, v65, v43, s[44:45]                 // 000000028984: D10000F9 00B25741
	v_mov_b32_dpp v64, v248 row_shr:8 row_mask:0xf bank_mask:0xf// 00000002898C: 7E8002FA FF0118F8
	v_mov_b32_dpp v65, v248 row_shl:8 row_mask:0xf bank_mask:0xf// 000000028994: 7E8202FA FF0108F8
	v_mov_b32_dpp v66, v249 row_shr:8 row_mask:0xf bank_mask:0xf// 00000002899C: 7E8402FA FF0118F9
	v_mov_b32_dpp v67, v249 row_shl:8 row_mask:0xf bank_mask:0xf// 0000000289A4: 7E8602FA FF0108F9
	v_mov_b32_e32 v68, v248                                    // 0000000289AC: 7E8803F8
	v_mov_b32_e32 v69, v249                                    // 0000000289B0: 7E8A03F9
	v_cndmask_b32_e64 v248, v68, v64, s[42:43]                 // 0000000289B4: D10000F8 00AA8144
	v_cndmask_b32_e64 v250, v68, v65, s[78:79]                 // 0000000289BC: D10000FA 013A8344
	v_cndmask_b32_e64 v249, v69, v66, s[42:43]                 // 0000000289C4: D10000F9 00AA8545
	v_cndmask_b32_e64 v251, v69, v67, s[78:79]                 // 0000000289CC: D10000FB 013A8745
	v_mov_b32_dpp v64, v58 row_shr:4 row_mask:0xf bank_mask:0xf// 0000000289D4: 7E8002FA FF01143A
	v_mov_b32_dpp v65, v58 row_shl:4 row_mask:0xf bank_mask:0xf// 0000000289DC: 7E8202FA FF01043A
	v_cndmask_b32_e64 v252, v58, v64, s[44:45]                 // 0000000289E4: D10000FC 00B2813A
	v_cndmask_b32_e64 v253, v65, v58, s[44:45]                 // 0000000289EC: D10000FD 00B27541
	v_mov_b32_dpp v64, v252 row_shr:8 row_mask:0xf bank_mask:0xf// 0000000289F4: 7E8002FA FF0118FC
	v_mov_b32_dpp v65, v252 row_shl:8 row_mask:0xf bank_mask:0xf// 0000000289FC: 7E8202FA FF0108FC
	v_mov_b32_dpp v66, v253 row_shr:8 row_mask:0xf bank_mask:0xf// 000000028A04: 7E8402FA FF0118FD
	v_mov_b32_dpp v67, v253 row_shl:8 row_mask:0xf bank_mask:0xf// 000000028A0C: 7E8602FA FF0108FD
	v_mov_b32_e32 v68, v252                                    // 000000028A14: 7E8803FC
	v_mov_b32_e32 v69, v253                                    // 000000028A18: 7E8A03FD
	v_cndmask_b32_e64 v252, v68, v64, s[42:43]                 // 000000028A1C: D10000FC 00AA8144
	v_cndmask_b32_e64 v254, v68, v65, s[78:79]                 // 000000028A24: D10000FE 013A8344
	v_cndmask_b32_e64 v253, v69, v66, s[42:43]                 // 000000028A2C: D10000FD 00AA8545
	v_cndmask_b32_e64 v255, v69, v67, s[78:79]                 // 000000028A34: D10000FF 013A8745
	v_cvt_f32_i32_e32 v144, v144                               // 000000028A3C: 7F200B90
	v_cvt_f32_i32_e32 v145, v145                               // 000000028A40: 7F220B91
	v_cvt_f32_i32_e32 v146, v146                               // 000000028A44: 7F240B92
	v_cvt_f32_i32_e32 v147, v147                               // 000000028A48: 7F260B93
	v_cvt_f32_i32_e32 v148, v148                               // 000000028A4C: 7F280B94
	v_cvt_f32_i32_e32 v149, v149                               // 000000028A50: 7F2A0B95
	v_cvt_f32_i32_e32 v150, v150                               // 000000028A54: 7F2C0B96
	v_cvt_f32_i32_e32 v151, v151                               // 000000028A58: 7F2E0B97
	v_cvt_f32_i32_e32 v152, v152                               // 000000028A5C: 7F300B98
	v_cvt_f32_i32_e32 v153, v153                               // 000000028A60: 7F320B99
	v_cvt_f32_i32_e32 v154, v154                               // 000000028A64: 7F340B9A
	v_cvt_f32_i32_e32 v155, v155                               // 000000028A68: 7F360B9B
	v_cvt_f32_i32_e32 v156, v156                               // 000000028A6C: 7F380B9C
	v_cvt_f32_i32_e32 v157, v157                               // 000000028A70: 7F3A0B9D
	v_cvt_f32_i32_e32 v158, v158                               // 000000028A74: 7F3C0B9E
	v_cvt_f32_i32_e32 v159, v159                               // 000000028A78: 7F3E0B9F
	v_mul_f32_e32 v144, v20, v144                              // 000000028A7C: 0B212114
	v_mul_f32_e32 v145, v20, v145                              // 000000028A80: 0B232314
	v_mul_f32_e32 v146, v20, v146                              // 000000028A84: 0B252514
	v_mul_f32_e32 v147, v20, v147                              // 000000028A88: 0B272714
	v_mul_f32_e32 v148, v20, v148                              // 000000028A8C: 0B292914
	v_mul_f32_e32 v149, v20, v149                              // 000000028A90: 0B2B2B14
	v_mul_f32_e32 v150, v20, v150                              // 000000028A94: 0B2D2D14
	v_mul_f32_e32 v151, v20, v151                              // 000000028A98: 0B2F2F14
	v_mul_f32_e32 v152, v20, v152                              // 000000028A9C: 0B313114
	v_mul_f32_e32 v153, v20, v153                              // 000000028AA0: 0B333314
	v_mul_f32_e32 v154, v20, v154                              // 000000028AA4: 0B353514
	v_mul_f32_e32 v155, v20, v155                              // 000000028AA8: 0B373714
	v_mul_f32_e32 v156, v20, v156                              // 000000028AAC: 0B393914
	v_mul_f32_e32 v157, v20, v157                              // 000000028AB0: 0B3B3B14
	v_mul_f32_e32 v158, v20, v158                              // 000000028AB4: 0B3D3D14
	v_mul_f32_e32 v159, v20, v159                              // 000000028AB8: 0B3F3F14
	v_mul_f32_dpp v144, v248, v144 quad_perm:[0,0,0,0] row_mask:0xf bank_mask:0xf// 000000028ABC: 0B2120FA FF0000F8
	v_mul_f32_dpp v145, v248, v145 quad_perm:[1,1,1,1] row_mask:0xf bank_mask:0xf// 000000028AC4: 0B2322FA FF0055F8
	v_mul_f32_dpp v146, v248, v146 quad_perm:[2,2,2,2] row_mask:0xf bank_mask:0xf// 000000028ACC: 0B2524FA FF00AAF8
	v_mul_f32_dpp v147, v248, v147 quad_perm:[3,3,3,3] row_mask:0xf bank_mask:0xf// 000000028AD4: 0B2726FA FF00FFF8
	v_mul_f32_dpp v148, v249, v148 quad_perm:[0,0,0,0] row_mask:0xf bank_mask:0xf// 000000028ADC: 0B2928FA FF0000F9
	v_mul_f32_dpp v149, v249, v149 quad_perm:[1,1,1,1] row_mask:0xf bank_mask:0xf// 000000028AE4: 0B2B2AFA FF0055F9
	v_mul_f32_dpp v150, v249, v150 quad_perm:[2,2,2,2] row_mask:0xf bank_mask:0xf// 000000028AEC: 0B2D2CFA FF00AAF9
	v_mul_f32_dpp v151, v249, v151 quad_perm:[3,3,3,3] row_mask:0xf bank_mask:0xf// 000000028AF4: 0B2F2EFA FF00FFF9
	v_mul_f32_dpp v152, v250, v152 quad_perm:[0,0,0,0] row_mask:0xf bank_mask:0xf// 000000028AFC: 0B3130FA FF0000FA
	v_mul_f32_dpp v153, v250, v153 quad_perm:[1,1,1,1] row_mask:0xf bank_mask:0xf// 000000028B04: 0B3332FA FF0055FA
	v_mul_f32_dpp v154, v250, v154 quad_perm:[2,2,2,2] row_mask:0xf bank_mask:0xf// 000000028B0C: 0B3534FA FF00AAFA
	v_mul_f32_dpp v155, v250, v155 quad_perm:[3,3,3,3] row_mask:0xf bank_mask:0xf// 000000028B14: 0B3736FA FF00FFFA
	v_mul_f32_dpp v156, v251, v156 quad_perm:[0,0,0,0] row_mask:0xf bank_mask:0xf// 000000028B1C: 0B3938FA FF0000FB
	v_mul_f32_dpp v157, v251, v157 quad_perm:[1,1,1,1] row_mask:0xf bank_mask:0xf// 000000028B24: 0B3B3AFA FF0055FB
	v_mul_f32_dpp v158, v251, v158 quad_perm:[2,2,2,2] row_mask:0xf bank_mask:0xf// 000000028B2C: 0B3D3CFA FF00AAFB
	v_mul_f32_dpp v159, v251, v159 quad_perm:[3,3,3,3] row_mask:0xf bank_mask:0xf// 000000028B34: 0B3F3EFA FF00FFFB
	s_and_b32 s60, s72, 0xff                                   // 000000028B3C: 863CFF48 000000FF
	v_mov_b32_e32 v65, s60                                     // 000000028B44: 7E82023C
	v_lshrrev_b32_e32 v240, 4, v0                              // 000000028B48: 21E00084
	v_mul_i32_i24_e32 v240, 4, v240                            // 000000028B4C: 0DE1E084
	s_mul_i32 s60, s7, 16                                      // 000000028B50: 923C9007
	v_add_u32_e32 v240, s60, v240                              // 000000028B54: 69E1E03C
	v_add_u32_e32 v241, 1, v240                                // 000000028B58: 69E3E081
	v_add_u32_e32 v242, 2, v240                                // 000000028B5C: 69E5E082
	v_add_u32_e32 v243, 3, v240                                // 000000028B60: 69E7E083
	v_mov_b32_e32 v64, 0xff800000                              // 000000028B64: 7E8002FF FF800000
	v_cmp_lt_u32_e64 s[40:41], v240, v65                       // 000000028B6C: D0C90028 000283F0
	v_add_u32_e32 v240, 64, v240                               // 000000028B74: 69E1E0C0
	s_nop 0                                                    // 000000028B78: BF800000
	v_cndmask_b32_e64 v144, v64, v144, s[40:41]                // 000000028B7C: D1000090 00A32140
	v_cmp_lt_u32_e64 s[40:41], v241, v65                       // 000000028B84: D0C90028 000283F1
	v_add_u32_e32 v241, 64, v241                               // 000000028B8C: 69E3E2C0
	s_nop 0                                                    // 000000028B90: BF800000
	v_cndmask_b32_e64 v145, v64, v145, s[40:41]                // 000000028B94: D1000091 00A32340
	v_cmp_lt_u32_e64 s[40:41], v242, v65                       // 000000028B9C: D0C90028 000283F2
	v_add_u32_e32 v242, 64, v242                               // 000000028BA4: 69E5E4C0
	s_nop 0                                                    // 000000028BA8: BF800000
	v_cndmask_b32_e64 v146, v64, v146, s[40:41]                // 000000028BAC: D1000092 00A32540
	v_cmp_lt_u32_e64 s[40:41], v243, v65                       // 000000028BB4: D0C90028 000283F3
	v_add_u32_e32 v243, 64, v243                               // 000000028BBC: 69E7E6C0
	s_nop 0                                                    // 000000028BC0: BF800000
	v_cndmask_b32_e64 v147, v64, v147, s[40:41]                // 000000028BC4: D1000093 00A32740
	v_cmp_lt_u32_e64 s[40:41], v240, v65                       // 000000028BCC: D0C90028 000283F0
	v_add_u32_e32 v240, 64, v240                               // 000000028BD4: 69E1E0C0
	s_nop 0                                                    // 000000028BD8: BF800000
	v_cndmask_b32_e64 v148, v64, v148, s[40:41]                // 000000028BDC: D1000094 00A32940
	v_cmp_lt_u32_e64 s[40:41], v241, v65                       // 000000028BE4: D0C90028 000283F1
	v_add_u32_e32 v241, 64, v241                               // 000000028BEC: 69E3E2C0
	s_nop 0                                                    // 000000028BF0: BF800000
	v_cndmask_b32_e64 v149, v64, v149, s[40:41]                // 000000028BF4: D1000095 00A32B40
	v_cmp_lt_u32_e64 s[40:41], v242, v65                       // 000000028BFC: D0C90028 000283F2
	v_add_u32_e32 v242, 64, v242                               // 000000028C04: 69E5E4C0
	s_nop 0                                                    // 000000028C08: BF800000
	v_cndmask_b32_e64 v150, v64, v150, s[40:41]                // 000000028C0C: D1000096 00A32D40
	v_cmp_lt_u32_e64 s[40:41], v243, v65                       // 000000028C14: D0C90028 000283F3
	v_add_u32_e32 v243, 64, v243                               // 000000028C1C: 69E7E6C0
	s_nop 0                                                    // 000000028C20: BF800000
	v_cndmask_b32_e64 v151, v64, v151, s[40:41]                // 000000028C24: D1000097 00A32F40
	v_cmp_lt_u32_e64 s[40:41], v240, v65                       // 000000028C2C: D0C90028 000283F0
	v_add_u32_e32 v240, 64, v240                               // 000000028C34: 69E1E0C0
	s_nop 0                                                    // 000000028C38: BF800000
	v_cndmask_b32_e64 v152, v64, v152, s[40:41]                // 000000028C3C: D1000098 00A33140
	v_cmp_lt_u32_e64 s[40:41], v241, v65                       // 000000028C44: D0C90028 000283F1
	v_add_u32_e32 v241, 64, v241                               // 000000028C4C: 69E3E2C0
	s_nop 0                                                    // 000000028C50: BF800000
	v_cndmask_b32_e64 v153, v64, v153, s[40:41]                // 000000028C54: D1000099 00A33340
	v_cmp_lt_u32_e64 s[40:41], v242, v65                       // 000000028C5C: D0C90028 000283F2
	v_add_u32_e32 v242, 64, v242                               // 000000028C64: 69E5E4C0
	s_nop 0                                                    // 000000028C68: BF800000
	v_cndmask_b32_e64 v154, v64, v154, s[40:41]                // 000000028C6C: D100009A 00A33540
	v_cmp_lt_u32_e64 s[40:41], v243, v65                       // 000000028C74: D0C90028 000283F3
	v_add_u32_e32 v243, 64, v243                               // 000000028C7C: 69E7E6C0
	s_nop 0                                                    // 000000028C80: BF800000
	v_cndmask_b32_e64 v155, v64, v155, s[40:41]                // 000000028C84: D100009B 00A33740
	v_cmp_lt_u32_e64 s[40:41], v240, v65                       // 000000028C8C: D0C90028 000283F0
	v_add_u32_e32 v240, 64, v240                               // 000000028C94: 69E1E0C0
	s_nop 0                                                    // 000000028C98: BF800000
	v_cndmask_b32_e64 v156, v64, v156, s[40:41]                // 000000028C9C: D100009C 00A33940
	v_cmp_lt_u32_e64 s[40:41], v241, v65                       // 000000028CA4: D0C90028 000283F1
	v_add_u32_e32 v241, 64, v241                               // 000000028CAC: 69E3E2C0
	s_nop 0                                                    // 000000028CB0: BF800000
	v_cndmask_b32_e64 v157, v64, v157, s[40:41]                // 000000028CB4: D100009D 00A33B40
	v_cmp_lt_u32_e64 s[40:41], v242, v65                       // 000000028CBC: D0C90028 000283F2
	v_add_u32_e32 v242, 64, v242                               // 000000028CC4: 69E5E4C0
	s_nop 0                                                    // 000000028CC8: BF800000
	v_cndmask_b32_e64 v158, v64, v158, s[40:41]                // 000000028CCC: D100009E 00A33D40
	v_cmp_lt_u32_e64 s[40:41], v243, v65                       // 000000028CD4: D0C90028 000283F3
	v_add_u32_e32 v243, 64, v243                               // 000000028CDC: 69E7E6C0
	s_nop 0                                                    // 000000028CE0: BF800000
	v_cndmask_b32_e64 v159, v64, v159, s[40:41]                // 000000028CE4: D100009F 00A33F40
	v_mov_b32_e32 v48, v144                                    // 000000028CEC: 7E600390
	v_max3_f32 v48, v144, v145, v48                            // 000000028CF0: D1D30030 04C32390
	v_max3_f32 v48, v146, v147, v48                            // 000000028CF8: D1D30030 04C32792
	v_max3_f32 v48, v148, v149, v48                            // 000000028D00: D1D30030 04C32B94
	v_max3_f32 v48, v150, v151, v48                            // 000000028D08: D1D30030 04C32F96
	v_max3_f32 v48, v152, v153, v48                            // 000000028D10: D1D30030 04C33398
	v_max3_f32 v48, v154, v155, v48                            // 000000028D18: D1D30030 04C3379A
	v_max3_f32 v48, v156, v157, v48                            // 000000028D20: D1D30030 04C33B9C
	v_max3_f32 v48, v158, v159, v48                            // 000000028D28: D1D30030 04C33F9E
	ds_write_b32 v8, v48 offset:16896                          // 000000028D30: D81A4200 00003008
	v_mul_f32_e32 v224, v51, v224                              // 000000028D38: 0BC1C133
	v_mul_f32_e32 v225, v51, v225                              // 000000028D3C: 0BC3C333
	v_mul_f32_e32 v226, v51, v226                              // 000000028D40: 0BC5C533
	v_mul_f32_e32 v227, v51, v227                              // 000000028D44: 0BC7C733
	v_mul_f32_e32 v228, v51, v228                              // 000000028D48: 0BC9C933
	v_mul_f32_e32 v229, v51, v229                              // 000000028D4C: 0BCBCB33
	v_mul_f32_e32 v230, v51, v230                              // 000000028D50: 0BCDCD33
	v_mul_f32_e32 v231, v51, v231                              // 000000028D54: 0BCFCF33
	s_waitcnt lgkmcnt(0)                                       // 000000028D58: BF8CC07F
	s_barrier                                                  // 000000028D5C: BF8A0000
	ds_read_b32 v64, v7 offset:16896                           // 000000028D60: D86C4200 40000007
	ds_read_b32 v65, v7 offset:16960                           // 000000028D68: D86C4240 41000007
	ds_read_b32 v66, v7 offset:17024                           // 000000028D70: D86C4280 42000007
	ds_read_b32 v67, v7 offset:17088                           // 000000028D78: D86C42C0 43000007
	ds_read_b32 v68, v7 offset:17152                           // 000000028D80: D86C4300 44000007
	ds_read_b32 v69, v7 offset:17216                           // 000000028D88: D86C4340 45000007
	ds_read_b32 v70, v7 offset:17280                           // 000000028D90: D86C4380 46000007
	ds_read_b32 v71, v7 offset:17344                           // 000000028D98: D86C43C0 47000007
	ds_read_b32 v72, v7 offset:17408                           // 000000028DA0: D86C4400 48000007
	ds_read_b32 v73, v7 offset:17472                           // 000000028DA8: D86C4440 49000007
	ds_read_b32 v74, v7 offset:17536                           // 000000028DB0: D86C4480 4A000007
	ds_read_b32 v75, v7 offset:17600                           // 000000028DB8: D86C44C0 4B000007
	ds_read_b32 v76, v7 offset:17664                           // 000000028DC0: D86C4500 4C000007
	ds_read_b32 v77, v7 offset:17728                           // 000000028DC8: D86C4540 4D000007
	ds_read_b32 v78, v7 offset:17792                           // 000000028DD0: D86C4580 4E000007
	ds_read_b32 v79, v7 offset:17856                           // 000000028DD8: D86C45C0 4F000007
	v_cvt_f32_i32_e32 v192, v192                               // 000000028DE0: 7F800BC0
	v_cvt_f32_i32_e32 v193, v193                               // 000000028DE4: 7F820BC1
	v_cvt_f32_i32_e32 v194, v194                               // 000000028DE8: 7F840BC2
	v_cvt_f32_i32_e32 v195, v195                               // 000000028DEC: 7F860BC3
	v_cvt_f32_i32_e32 v196, v196                               // 000000028DF0: 7F880BC4
	v_cvt_f32_i32_e32 v197, v197                               // 000000028DF4: 7F8A0BC5
	v_cvt_f32_i32_e32 v198, v198                               // 000000028DF8: 7F8C0BC6
	v_cvt_f32_i32_e32 v199, v199                               // 000000028DFC: 7F8E0BC7
	v_mul_f32_e32 v192, v46, v192                              // 000000028E00: 0B81812E
	v_mul_f32_e32 v193, v46, v193                              // 000000028E04: 0B83832E
	v_mul_f32_e32 v194, v46, v194                              // 000000028E08: 0B85852E
	v_mul_f32_e32 v195, v46, v195                              // 000000028E0C: 0B87872E
	v_mul_f32_e32 v196, v46, v196                              // 000000028E10: 0B89892E
	v_mul_f32_e32 v197, v46, v197                              // 000000028E14: 0B8B8B2E
	v_mul_f32_e32 v198, v46, v198                              // 000000028E18: 0B8D8D2E
	v_mul_f32_e32 v199, v46, v199                              // 000000028E1C: 0B8F8F2E
	s_waitcnt lgkmcnt(0)                                       // 000000028E20: BF8CC07F
	v_max3_f32 v48, v64, v65, v48                              // 000000028E24: D1D30030 04C28340
	v_max3_f32 v48, v66, v67, v48                              // 000000028E2C: D1D30030 04C28742
	v_max3_f32 v48, v68, v69, v48                              // 000000028E34: D1D30030 04C28B44
	v_max3_f32 v48, v70, v71, v48                              // 000000028E3C: D1D30030 04C28F46
	v_max3_f32 v48, v72, v73, v48                              // 000000028E44: D1D30030 04C29348
	v_max3_f32 v48, v74, v75, v48                              // 000000028E4C: D1D30030 04C2974A
	v_max3_f32 v48, v76, v77, v48                              // 000000028E54: D1D30030 04C29B4C
	v_max3_f32 v48, v78, v79, v48                              // 000000028E5C: D1D30030 04C29F4E
	v_mov_b32_e32 v64, 0xff800000                              // 000000028E64: 7E8002FF FF800000
	v_cmp_eq_u32_e64 s[40:41], v64, v13                        // 000000028E6C: D0CA0028 00021B40
	s_nop 1                                                    // 000000028E74: BF800001
	v_max_f32_e32 v15, v48, v13                                // 000000028E78: 161E1B30
	v_mul_f32_e32 v53, s64, v15                                // 000000028E7C: 0A6A1E40
	v_fma_f32 v144, v144, s64, -v53                            // 000000028E80: D1CB0090 84D48190
	v_fma_f32 v145, v145, s64, -v53                            // 000000028E88: D1CB0091 84D48191
	v_fma_f32 v146, v146, s64, -v53                            // 000000028E90: D1CB0092 84D48192
	v_fma_f32 v147, v147, s64, -v53                            // 000000028E98: D1CB0093 84D48193
	v_fma_f32 v148, v148, s64, -v53                            // 000000028EA0: D1CB0094 84D48194
	v_fma_f32 v149, v149, s64, -v53                            // 000000028EA8: D1CB0095 84D48195
	v_fma_f32 v150, v150, s64, -v53                            // 000000028EB0: D1CB0096 84D48196
	v_fma_f32 v151, v151, s64, -v53                            // 000000028EB8: D1CB0097 84D48197
	v_fma_f32 v152, v152, s64, -v53                            // 000000028EC0: D1CB0098 84D48198
	v_fma_f32 v153, v153, s64, -v53                            // 000000028EC8: D1CB0099 84D48199
	v_fma_f32 v154, v154, s64, -v53                            // 000000028ED0: D1CB009A 84D4819A
	v_fma_f32 v155, v155, s64, -v53                            // 000000028ED8: D1CB009B 84D4819B
	v_fma_f32 v156, v156, s64, -v53                            // 000000028EE0: D1CB009C 84D4819C
	v_fma_f32 v157, v157, s64, -v53                            // 000000028EE8: D1CB009D 84D4819D
	v_fma_f32 v158, v158, s64, -v53                            // 000000028EF0: D1CB009E 84D4819E
	v_fma_f32 v159, v159, s64, -v53                            // 000000028EF8: D1CB009F 84D4819F
	v_exp_f32_e32 v144, v144                                   // 000000028F00: 7F204190
	v_exp_f32_e32 v145, v145                                   // 000000028F04: 7F224191
	v_exp_f32_e32 v146, v146                                   // 000000028F08: 7F244192
	v_exp_f32_e32 v147, v147                                   // 000000028F0C: 7F264193
	v_exp_f32_e32 v148, v148                                   // 000000028F10: 7F284194
	v_exp_f32_e32 v149, v149                                   // 000000028F14: 7F2A4195
	v_exp_f32_e32 v150, v150                                   // 000000028F18: 7F2C4196
	v_exp_f32_e32 v151, v151                                   // 000000028F1C: 7F2E4197
	v_exp_f32_e32 v152, v152                                   // 000000028F20: 7F304198
	v_exp_f32_e32 v153, v153                                   // 000000028F24: 7F324199
	v_exp_f32_e32 v154, v154                                   // 000000028F28: 7F34419A
	v_exp_f32_e32 v155, v155                                   // 000000028F2C: 7F36419B
	v_exp_f32_e32 v156, v156                                   // 000000028F30: 7F38419C
	v_exp_f32_e32 v157, v157                                   // 000000028F34: 7F3A419D
	v_exp_f32_e32 v158, v158                                   // 000000028F38: 7F3C419E
	v_exp_f32_e32 v159, v159                                   // 000000028F3C: 7F3E419F
	v_mul_f32_dpp v240, v252, v144 quad_perm:[0,0,0,0] row_mask:0xf bank_mask:0xf// 000000028F40: 0BE120FA FF0000FC
	v_mul_f32_dpp v241, v252, v145 quad_perm:[1,1,1,1] row_mask:0xf bank_mask:0xf// 000000028F48: 0BE322FA FF0055FC
	v_mul_f32_dpp v242, v252, v146 quad_perm:[2,2,2,2] row_mask:0xf bank_mask:0xf// 000000028F50: 0BE524FA FF00AAFC
	v_mul_f32_dpp v243, v252, v147 quad_perm:[3,3,3,3] row_mask:0xf bank_mask:0xf// 000000028F58: 0BE726FA FF00FFFC
	v_mul_f32_dpp v244, v253, v148 quad_perm:[0,0,0,0] row_mask:0xf bank_mask:0xf// 000000028F60: 0BE928FA FF0000FD
	v_mul_f32_dpp v245, v253, v149 quad_perm:[1,1,1,1] row_mask:0xf bank_mask:0xf// 000000028F68: 0BEB2AFA FF0055FD
	v_mul_f32_dpp v246, v253, v150 quad_perm:[2,2,2,2] row_mask:0xf bank_mask:0xf// 000000028F70: 0BED2CFA FF00AAFD
	v_mul_f32_dpp v247, v253, v151 quad_perm:[3,3,3,3] row_mask:0xf bank_mask:0xf// 000000028F78: 0BEF2EFA FF00FFFD
	v_mul_f32_dpp v248, v254, v152 quad_perm:[0,0,0,0] row_mask:0xf bank_mask:0xf// 000000028F80: 0BF130FA FF0000FE
	v_mul_f32_dpp v249, v254, v153 quad_perm:[1,1,1,1] row_mask:0xf bank_mask:0xf// 000000028F88: 0BF332FA FF0055FE
	v_mul_f32_dpp v250, v254, v154 quad_perm:[2,2,2,2] row_mask:0xf bank_mask:0xf// 000000028F90: 0BF534FA FF00AAFE
	v_mul_f32_dpp v251, v254, v155 quad_perm:[3,3,3,3] row_mask:0xf bank_mask:0xf// 000000028F98: 0BF736FA FF00FFFE
	v_mul_f32_dpp v252, v255, v156 quad_perm:[0,0,0,0] row_mask:0xf bank_mask:0xf// 000000028FA0: 0BF938FA FF0000FF
	v_mul_f32_dpp v253, v255, v157 quad_perm:[1,1,1,1] row_mask:0xf bank_mask:0xf// 000000028FA8: 0BFB3AFA FF0055FF
	v_mul_f32_dpp v254, v255, v158 quad_perm:[2,2,2,2] row_mask:0xf bank_mask:0xf// 000000028FB0: 0BFD3CFA FF00AAFF
	v_mul_f32_dpp v255, v255, v159 quad_perm:[3,3,3,3] row_mask:0xf bank_mask:0xf// 000000028FB8: 0BFF3EFA FF00FFFF
	v_mov_b32_e32 v48, 0x358637bd                              // 000000028FC0: 7E6002FF 358637BD
	v_max3_f32 v48, |v240|, |v241|, v48                        // 000000028FC8: D1D30330 04C3E3F0
	v_max3_f32 v48, |v242|, |v243|, v48                        // 000000028FD0: D1D30330 04C3E7F2
	v_max3_f32 v48, |v244|, |v245|, v48                        // 000000028FD8: D1D30330 04C3EBF4
	v_max3_f32 v48, |v246|, |v247|, v48                        // 000000028FE0: D1D30330 04C3EFF6
	v_max3_f32 v48, |v248|, |v249|, v48                        // 000000028FE8: D1D30330 04C3F3F8
	v_max3_f32 v48, |v250|, |v251|, v48                        // 000000028FF0: D1D30330 04C3F7FA
	v_max3_f32 v48, |v252|, |v253|, v48                        // 000000028FF8: D1D30330 04C3FBFC
	v_max3_f32 v48, |v254|, |v255|, v48                        // 000000029000: D1D30330 04C3FFFE
	ds_write_b32 v8, v48 offset:20992                          // 000000029008: D81A5200 00003008
	v_sub_f32_e32 v51, v13, v15                                // 000000029010: 04661F0D
	v_cndmask_b32_e64 v51, v51, 0, s[40:41]                    // 000000029014: D1000033 00A10133
	v_mov_b32_e32 v13, v15                                     // 00000002901C: 7E1A030F
	v_mul_f32_e32 v51, s64, v51                                // 000000029020: 0A666640
	v_exp_f32_e32 v51, v51                                     // 000000029024: 7E664133
	s_waitcnt lgkmcnt(0)                                       // 000000029028: BF8CC07F
	s_barrier                                                  // 00000002902C: BF8A0000
	ds_read_b32 v64, v7 offset:20992                           // 000000029030: D86C5200 40000007
	ds_read_b32 v65, v7 offset:21056                           // 000000029038: D86C5240 41000007
	ds_read_b32 v66, v7 offset:21120                           // 000000029040: D86C5280 42000007
	ds_read_b32 v67, v7 offset:21184                           // 000000029048: D86C52C0 43000007
	ds_read_b32 v68, v7 offset:21248                           // 000000029050: D86C5300 44000007
	ds_read_b32 v69, v7 offset:21312                           // 000000029058: D86C5340 45000007
	ds_read_b32 v70, v7 offset:21376                           // 000000029060: D86C5380 46000007
	ds_read_b32 v71, v7 offset:21440                           // 000000029068: D86C53C0 47000007
	ds_read_b32 v72, v7 offset:21504                           // 000000029070: D86C5400 48000007
	ds_read_b32 v73, v7 offset:21568                           // 000000029078: D86C5440 49000007
	ds_read_b32 v74, v7 offset:21632                           // 000000029080: D86C5480 4A000007
	ds_read_b32 v75, v7 offset:21696                           // 000000029088: D86C54C0 4B000007
	ds_read_b32 v76, v7 offset:21760                           // 000000029090: D86C5500 4C000007
	ds_read_b32 v77, v7 offset:21824                           // 000000029098: D86C5540 4D000007
	ds_read_b32 v78, v7 offset:21888                           // 0000000290A0: D86C5580 4E000007
	ds_read_b32 v79, v7 offset:21952                           // 0000000290A8: D86C55C0 4F000007
	v_mul_f32_e32 v40, v51, v40                                // 0000000290B0: 0A505133
	v_mov_b32_e32 v15, v144                                    // 0000000290B4: 7E1E0390
	v_add_f32_e32 v15, v145, v15                               // 0000000290B8: 021E1F91
	v_add_f32_e32 v15, v146, v15                               // 0000000290BC: 021E1F92
	v_add_f32_e32 v15, v147, v15                               // 0000000290C0: 021E1F93
	v_add_f32_e32 v15, v148, v15                               // 0000000290C4: 021E1F94
	v_add_f32_e32 v15, v149, v15                               // 0000000290C8: 021E1F95
	v_add_f32_e32 v15, v150, v15                               // 0000000290CC: 021E1F96
	v_add_f32_e32 v15, v151, v15                               // 0000000290D0: 021E1F97
	v_add_f32_e32 v15, v152, v15                               // 0000000290D4: 021E1F98
	v_add_f32_e32 v15, v153, v15                               // 0000000290D8: 021E1F99
	v_add_f32_e32 v15, v154, v15                               // 0000000290DC: 021E1F9A
	v_add_f32_e32 v15, v155, v15                               // 0000000290E0: 021E1F9B
	v_add_f32_e32 v15, v156, v15                               // 0000000290E4: 021E1F9C
	v_add_f32_e32 v15, v157, v15                               // 0000000290E8: 021E1F9D
	v_add_f32_e32 v15, v158, v15                               // 0000000290EC: 021E1F9E
	v_add_f32_e32 v15, v159, v15                               // 0000000290F0: 021E1F9F
	v_add_f32_e32 v40, v15, v40                                // 0000000290F4: 0250510F
	s_waitcnt lgkmcnt(0)                                       // 0000000290F8: BF8CC07F
	v_max3_f32 v48, |v64|, |v65|, v48                          // 0000000290FC: D1D30330 04C28340
	v_max3_f32 v48, |v66|, |v67|, v48                          // 000000029104: D1D30330 04C28742
	v_max3_f32 v48, |v68|, |v69|, v48                          // 00000002910C: D1D30330 04C28B44
	v_max3_f32 v48, |v70|, |v71|, v48                          // 000000029114: D1D30330 04C28F46
	v_max3_f32 v48, |v72|, |v73|, v48                          // 00000002911C: D1D30330 04C29348
	v_max3_f32 v48, |v74|, |v75|, v48                          // 000000029124: D1D30330 04C2974A
	v_max3_f32 v48, |v76|, |v77|, v48                          // 00000002912C: D1D30330 04C29B4C
	v_max3_f32 v48, |v78|, |v79|, v48                          // 000000029134: D1D30330 04C29F4E
	s_nop 2                                                    // 00000002913C: BF800002
	v_rcp_f32_e32 v48, v48                                     // 000000029140: 7E604530
	s_nop 1                                                    // 000000029144: BF800001
	v_mul_f32_e32 v48, 0x42fe0000, v48                         // 000000029148: 0A6060FF 42FE0000
	v_mul_f32_e32 v144, v48, v240                              // 000000029150: 0B21E130
	v_mul_f32_e32 v145, v48, v241                              // 000000029154: 0B23E330
	v_mul_f32_e32 v146, v48, v242                              // 000000029158: 0B25E530
	v_mul_f32_e32 v147, v48, v243                              // 00000002915C: 0B27E730
	v_mul_f32_e32 v148, v48, v244                              // 000000029160: 0B29E930
	v_mul_f32_e32 v149, v48, v245                              // 000000029164: 0B2BEB30
	v_mul_f32_e32 v150, v48, v246                              // 000000029168: 0B2DED30
	v_mul_f32_e32 v151, v48, v247                              // 00000002916C: 0B2FEF30
	v_mul_f32_e32 v152, v48, v248                              // 000000029170: 0B31F130
	v_mul_f32_e32 v153, v48, v249                              // 000000029174: 0B33F330
	v_mul_f32_e32 v154, v48, v250                              // 000000029178: 0B35F530
	v_mul_f32_e32 v155, v48, v251                              // 00000002917C: 0B37F730
	v_mul_f32_e32 v156, v48, v252                              // 000000029180: 0B39F930
	v_mul_f32_e32 v157, v48, v253                              // 000000029184: 0B3BFB30
	v_mul_f32_e32 v158, v48, v254                              // 000000029188: 0B3DFD30
	v_mul_f32_e32 v159, v48, v255                              // 00000002918C: 0B3FFF30
	v_cvt_i32_f32_e32 v144, v144                               // 000000029190: 7F201190
	v_cvt_i32_f32_e32 v145, v145                               // 000000029194: 7F221191
	v_cvt_i32_f32_e32 v146, v146                               // 000000029198: 7F241192
	v_cvt_i32_f32_e32 v147, v147                               // 00000002919C: 7F261193
	v_cvt_i32_f32_e32 v148, v148                               // 0000000291A0: 7F281194
	v_cvt_i32_f32_e32 v149, v149                               // 0000000291A4: 7F2A1195
	v_cvt_i32_f32_e32 v150, v150                               // 0000000291A8: 7F2C1196
	v_cvt_i32_f32_e32 v151, v151                               // 0000000291AC: 7F2E1197
	v_cvt_i32_f32_e32 v152, v152                               // 0000000291B0: 7F301198
	v_cvt_i32_f32_e32 v153, v153                               // 0000000291B4: 7F321199
	v_cvt_i32_f32_e32 v154, v154                               // 0000000291B8: 7F34119A
	v_cvt_i32_f32_e32 v155, v155                               // 0000000291BC: 7F36119B
	v_cvt_i32_f32_e32 v156, v156                               // 0000000291C0: 7F38119C
	v_cvt_i32_f32_e32 v157, v157                               // 0000000291C4: 7F3A119D
	v_cvt_i32_f32_e32 v158, v158                               // 0000000291C8: 7F3C119E
	v_cvt_i32_f32_e32 v159, v159                               // 0000000291CC: 7F3E119F
	v_perm_b32 v144, v145, v144, s53                           // 0000000291D0: D1ED0090 00D72191
	v_perm_b32 v144, v146, v144, s54                           // 0000000291D8: D1ED0090 00DB2192
	v_perm_b32 v144, v147, v144, s55                           // 0000000291E0: D1ED0090 00DF2193
	v_perm_b32 v145, v149, v148, s53                           // 0000000291E8: D1ED0091 00D72995
	v_perm_b32 v145, v150, v145, s54                           // 0000000291F0: D1ED0091 00DB2396
	v_perm_b32 v145, v151, v145, s55                           // 0000000291F8: D1ED0091 00DF2397
	v_perm_b32 v146, v153, v152, s53                           // 000000029200: D1ED0092 00D73199
	v_perm_b32 v146, v154, v146, s54                           // 000000029208: D1ED0092 00DB259A
	v_perm_b32 v146, v155, v146, s55                           // 000000029210: D1ED0092 00DF259B
	v_perm_b32 v147, v157, v156, s53                           // 000000029218: D1ED0093 00D7399D
	v_perm_b32 v147, v158, v147, s54                           // 000000029220: D1ED0093 00DB279E
	v_perm_b32 v147, v159, v147, s55                           // 000000029228: D1ED0093 00DF279F
	ds_write_b32 v10, v144 offset:33280                        // 000000029230: D81A8200 0000900A
	ds_write_b32 v10, v145 offset:34304                        // 000000029238: D81A8600 0000910A
	ds_write_b32 v10, v146 offset:35328                        // 000000029240: D81A8A00 0000920A
	ds_write_b32 v10, v147 offset:36352                        // 000000029248: D81A8E00 0000930A
	v_add_f32_e32 v224, v224, v192                             // 000000029250: 03C181E0
	v_add_f32_e32 v225, v225, v193                             // 000000029254: 03C383E1
	v_add_f32_e32 v226, v226, v194                             // 000000029258: 03C585E2
	v_add_f32_e32 v227, v227, v195                             // 00000002925C: 03C787E3
	v_add_f32_e32 v228, v228, v196                             // 000000029260: 03C989E4
	v_add_f32_e32 v229, v229, v197                             // 000000029264: 03CB8BE5
	v_add_f32_e32 v230, v230, v198                             // 000000029268: 03CD8DE6
	v_add_f32_e32 v231, v231, v199                             // 00000002926C: 03CF8FE7
	v_rcp_f32_e32 v46, v48                                     // 000000029270: 7E5C4530
	s_waitcnt lgkmcnt(0)                                       // 000000029274: BF8CC07F
	s_barrier                                                  // 000000029278: BF8A0000
	ds_read_b64 v[144:145], v9 offset:33280                    // 00000002927C: D8EC8200 90000009
	ds_read_b64 v[146:147], v9 offset:33408                    // 000000029284: D8EC8280 92000009
	ds_read_b64 v[148:149], v9 offset:34304                    // 00000002928C: D8EC8600 94000009
	ds_read_b64 v[150:151], v9 offset:34432                    // 000000029294: D8EC8680 96000009
	ds_read_b64 v[152:153], v9 offset:35328                    // 00000002929C: D8EC8A00 98000009
	ds_read_b64 v[154:155], v9 offset:35456                    // 0000000292A4: D8EC8A80 9A000009
	ds_read_b64 v[156:157], v9 offset:36352                    // 0000000292AC: D8EC8E00 9C000009
	ds_read_b64 v[158:159], v9 offset:36480                    // 0000000292B4: D8EC8E80 9E000009
	v_mov_b32_dpp v64, v43 row_shr:4 row_mask:0xf bank_mask:0xf// 0000000292BC: 7E8002FA FF01142B
	v_mov_b32_dpp v65, v43 row_shl:4 row_mask:0xf bank_mask:0xf// 0000000292C4: 7E8202FA FF01042B
	v_cndmask_b32_e64 v248, v43, v64, s[44:45]                 // 0000000292CC: D10000F8 00B2812B
	v_cndmask_b32_e64 v249, v65, v43, s[44:45]                 // 0000000292D4: D10000F9 00B25741
	v_mov_b32_dpp v64, v248 row_shr:8 row_mask:0xf bank_mask:0xf// 0000000292DC: 7E8002FA FF0118F8
	v_mov_b32_dpp v65, v248 row_shl:8 row_mask:0xf bank_mask:0xf// 0000000292E4: 7E8202FA FF0108F8
	v_mov_b32_dpp v66, v249 row_shr:8 row_mask:0xf bank_mask:0xf// 0000000292EC: 7E8402FA FF0118F9
	v_mov_b32_dpp v67, v249 row_shl:8 row_mask:0xf bank_mask:0xf// 0000000292F4: 7E8602FA FF0108F9
	v_mov_b32_e32 v68, v248                                    // 0000000292FC: 7E8803F8
	v_mov_b32_e32 v69, v249                                    // 000000029300: 7E8A03F9
	v_cndmask_b32_e64 v248, v68, v64, s[42:43]                 // 000000029304: D10000F8 00AA8144
	v_cndmask_b32_e64 v250, v68, v65, s[78:79]                 // 00000002930C: D10000FA 013A8344
	v_cndmask_b32_e64 v249, v69, v66, s[42:43]                 // 000000029314: D10000F9 00AA8545
	v_cndmask_b32_e64 v251, v69, v67, s[78:79]                 // 00000002931C: D10000FB 013A8745
	v_mov_b32_dpp v64, v58 row_shr:4 row_mask:0xf bank_mask:0xf// 000000029324: 7E8002FA FF01143A
	v_mov_b32_dpp v65, v58 row_shl:4 row_mask:0xf bank_mask:0xf// 00000002932C: 7E8202FA FF01043A
	v_cndmask_b32_e64 v252, v58, v64, s[44:45]                 // 000000029334: D10000FC 00B2813A
	v_cndmask_b32_e64 v253, v65, v58, s[44:45]                 // 00000002933C: D10000FD 00B27541
	v_mov_b32_dpp v64, v252 row_shr:8 row_mask:0xf bank_mask:0xf// 000000029344: 7E8002FA FF0118FC
	v_mov_b32_dpp v65, v252 row_shl:8 row_mask:0xf bank_mask:0xf// 00000002934C: 7E8202FA FF0108FC
	v_mov_b32_dpp v66, v253 row_shr:8 row_mask:0xf bank_mask:0xf// 000000029354: 7E8402FA FF0118FD
	v_mov_b32_dpp v67, v253 row_shl:8 row_mask:0xf bank_mask:0xf// 00000002935C: 7E8602FA FF0108FD
	v_mov_b32_e32 v68, v252                                    // 000000029364: 7E8803FC
	v_mov_b32_e32 v69, v253                                    // 000000029368: 7E8A03FD
	v_cndmask_b32_e64 v252, v68, v64, s[42:43]                 // 00000002936C: D10000FC 00AA8144
	v_cndmask_b32_e64 v254, v68, v65, s[78:79]                 // 000000029374: D10000FE 013A8344
	v_cndmask_b32_e64 v253, v69, v66, s[42:43]                 // 00000002937C: D10000FD 00AA8545
	v_cndmask_b32_e64 v255, v69, v67, s[78:79]                 // 000000029384: D10000FF 013A8745
	v_cvt_f32_i32_e32 v160, v160                               // 00000002938C: 7F400BA0
	v_cvt_f32_i32_e32 v161, v161                               // 000000029390: 7F420BA1
	v_cvt_f32_i32_e32 v162, v162                               // 000000029394: 7F440BA2
	v_cvt_f32_i32_e32 v163, v163                               // 000000029398: 7F460BA3
	v_cvt_f32_i32_e32 v164, v164                               // 00000002939C: 7F480BA4
	v_cvt_f32_i32_e32 v165, v165                               // 0000000293A0: 7F4A0BA5
	v_cvt_f32_i32_e32 v166, v166                               // 0000000293A4: 7F4C0BA6
	v_cvt_f32_i32_e32 v167, v167                               // 0000000293A8: 7F4E0BA7
	v_cvt_f32_i32_e32 v168, v168                               // 0000000293AC: 7F500BA8
	v_cvt_f32_i32_e32 v169, v169                               // 0000000293B0: 7F520BA9
	v_cvt_f32_i32_e32 v170, v170                               // 0000000293B4: 7F540BAA
	v_cvt_f32_i32_e32 v171, v171                               // 0000000293B8: 7F560BAB
	v_cvt_f32_i32_e32 v172, v172                               // 0000000293BC: 7F580BAC
	v_cvt_f32_i32_e32 v173, v173                               // 0000000293C0: 7F5A0BAD
	v_cvt_f32_i32_e32 v174, v174                               // 0000000293C4: 7F5C0BAE
	v_cvt_f32_i32_e32 v175, v175                               // 0000000293C8: 7F5E0BAF
	v_mul_f32_e32 v160, v21, v160                              // 0000000293CC: 0B414115
	v_mul_f32_e32 v161, v21, v161                              // 0000000293D0: 0B434315
	v_mul_f32_e32 v162, v21, v162                              // 0000000293D4: 0B454515
	v_mul_f32_e32 v163, v21, v163                              // 0000000293D8: 0B474715
	v_mul_f32_e32 v164, v21, v164                              // 0000000293DC: 0B494915
	v_mul_f32_e32 v165, v21, v165                              // 0000000293E0: 0B4B4B15
	v_mul_f32_e32 v166, v21, v166                              // 0000000293E4: 0B4D4D15
	v_mul_f32_e32 v167, v21, v167                              // 0000000293E8: 0B4F4F15
	v_mul_f32_e32 v168, v21, v168                              // 0000000293EC: 0B515115
	v_mul_f32_e32 v169, v21, v169                              // 0000000293F0: 0B535315
	v_mul_f32_e32 v170, v21, v170                              // 0000000293F4: 0B555515
	v_mul_f32_e32 v171, v21, v171                              // 0000000293F8: 0B575715
	v_mul_f32_e32 v172, v21, v172                              // 0000000293FC: 0B595915
	v_mul_f32_e32 v173, v21, v173                              // 000000029400: 0B5B5B15
	v_mul_f32_e32 v174, v21, v174                              // 000000029404: 0B5D5D15
	v_mul_f32_e32 v175, v21, v175                              // 000000029408: 0B5F5F15
	v_mul_f32_dpp v160, v248, v160 quad_perm:[0,0,0,0] row_mask:0xf bank_mask:0xf// 00000002940C: 0B4140FA FF0000F8
	v_mul_f32_dpp v161, v248, v161 quad_perm:[1,1,1,1] row_mask:0xf bank_mask:0xf// 000000029414: 0B4342FA FF0055F8
	v_mul_f32_dpp v162, v248, v162 quad_perm:[2,2,2,2] row_mask:0xf bank_mask:0xf// 00000002941C: 0B4544FA FF00AAF8
	v_mul_f32_dpp v163, v248, v163 quad_perm:[3,3,3,3] row_mask:0xf bank_mask:0xf// 000000029424: 0B4746FA FF00FFF8
	v_mul_f32_dpp v164, v249, v164 quad_perm:[0,0,0,0] row_mask:0xf bank_mask:0xf// 00000002942C: 0B4948FA FF0000F9
	v_mul_f32_dpp v165, v249, v165 quad_perm:[1,1,1,1] row_mask:0xf bank_mask:0xf// 000000029434: 0B4B4AFA FF0055F9
	v_mul_f32_dpp v166, v249, v166 quad_perm:[2,2,2,2] row_mask:0xf bank_mask:0xf// 00000002943C: 0B4D4CFA FF00AAF9
	v_mul_f32_dpp v167, v249, v167 quad_perm:[3,3,3,3] row_mask:0xf bank_mask:0xf// 000000029444: 0B4F4EFA FF00FFF9
	v_mul_f32_dpp v168, v250, v168 quad_perm:[0,0,0,0] row_mask:0xf bank_mask:0xf// 00000002944C: 0B5150FA FF0000FA
	v_mul_f32_dpp v169, v250, v169 quad_perm:[1,1,1,1] row_mask:0xf bank_mask:0xf// 000000029454: 0B5352FA FF0055FA
	v_mul_f32_dpp v170, v250, v170 quad_perm:[2,2,2,2] row_mask:0xf bank_mask:0xf// 00000002945C: 0B5554FA FF00AAFA
	v_mul_f32_dpp v171, v250, v171 quad_perm:[3,3,3,3] row_mask:0xf bank_mask:0xf// 000000029464: 0B5756FA FF00FFFA
	v_mul_f32_dpp v172, v251, v172 quad_perm:[0,0,0,0] row_mask:0xf bank_mask:0xf// 00000002946C: 0B5958FA FF0000FB
	v_mul_f32_dpp v173, v251, v173 quad_perm:[1,1,1,1] row_mask:0xf bank_mask:0xf// 000000029474: 0B5B5AFA FF0055FB
	v_mul_f32_dpp v174, v251, v174 quad_perm:[2,2,2,2] row_mask:0xf bank_mask:0xf// 00000002947C: 0B5D5CFA FF00AAFB
	v_mul_f32_dpp v175, v251, v175 quad_perm:[3,3,3,3] row_mask:0xf bank_mask:0xf// 000000029484: 0B5F5EFA FF00FFFB
	s_and_b32 s60, s72, 0xff                                   // 00000002948C: 863CFF48 000000FF
	v_mov_b32_e32 v65, s60                                     // 000000029494: 7E82023C
	v_lshrrev_b32_e32 v240, 4, v0                              // 000000029498: 21E00084
	v_mul_i32_i24_e32 v240, 4, v240                            // 00000002949C: 0DE1E084
	s_mul_i32 s60, s7, 16                                      // 0000000294A0: 923C9007
	v_add_u32_e32 v240, s60, v240                              // 0000000294A4: 69E1E03C
	v_add_u32_e32 v241, 1, v240                                // 0000000294A8: 69E3E081
	v_add_u32_e32 v242, 2, v240                                // 0000000294AC: 69E5E082
	v_add_u32_e32 v243, 3, v240                                // 0000000294B0: 69E7E083
	v_mov_b32_e32 v64, 0xff800000                              // 0000000294B4: 7E8002FF FF800000
	v_cmp_lt_u32_e64 s[40:41], v240, v65                       // 0000000294BC: D0C90028 000283F0
	v_add_u32_e32 v240, 64, v240                               // 0000000294C4: 69E1E0C0
	s_nop 0                                                    // 0000000294C8: BF800000
	v_cndmask_b32_e64 v160, v64, v160, s[40:41]                // 0000000294CC: D10000A0 00A34140
	v_cmp_lt_u32_e64 s[40:41], v241, v65                       // 0000000294D4: D0C90028 000283F1
	v_add_u32_e32 v241, 64, v241                               // 0000000294DC: 69E3E2C0
	s_nop 0                                                    // 0000000294E0: BF800000
	v_cndmask_b32_e64 v161, v64, v161, s[40:41]                // 0000000294E4: D10000A1 00A34340
	v_cmp_lt_u32_e64 s[40:41], v242, v65                       // 0000000294EC: D0C90028 000283F2
	v_add_u32_e32 v242, 64, v242                               // 0000000294F4: 69E5E4C0
	s_nop 0                                                    // 0000000294F8: BF800000
	v_cndmask_b32_e64 v162, v64, v162, s[40:41]                // 0000000294FC: D10000A2 00A34540
	v_cmp_lt_u32_e64 s[40:41], v243, v65                       // 000000029504: D0C90028 000283F3
	v_add_u32_e32 v243, 64, v243                               // 00000002950C: 69E7E6C0
	s_nop 0                                                    // 000000029510: BF800000
	v_cndmask_b32_e64 v163, v64, v163, s[40:41]                // 000000029514: D10000A3 00A34740
	v_cmp_lt_u32_e64 s[40:41], v240, v65                       // 00000002951C: D0C90028 000283F0
	v_add_u32_e32 v240, 64, v240                               // 000000029524: 69E1E0C0
	s_nop 0                                                    // 000000029528: BF800000
	v_cndmask_b32_e64 v164, v64, v164, s[40:41]                // 00000002952C: D10000A4 00A34940
	v_cmp_lt_u32_e64 s[40:41], v241, v65                       // 000000029534: D0C90028 000283F1
	v_add_u32_e32 v241, 64, v241                               // 00000002953C: 69E3E2C0
	s_nop 0                                                    // 000000029540: BF800000
	v_cndmask_b32_e64 v165, v64, v165, s[40:41]                // 000000029544: D10000A5 00A34B40
	v_cmp_lt_u32_e64 s[40:41], v242, v65                       // 00000002954C: D0C90028 000283F2
	v_add_u32_e32 v242, 64, v242                               // 000000029554: 69E5E4C0
	s_nop 0                                                    // 000000029558: BF800000
	v_cndmask_b32_e64 v166, v64, v166, s[40:41]                // 00000002955C: D10000A6 00A34D40
	v_cmp_lt_u32_e64 s[40:41], v243, v65                       // 000000029564: D0C90028 000283F3
	v_add_u32_e32 v243, 64, v243                               // 00000002956C: 69E7E6C0
	s_nop 0                                                    // 000000029570: BF800000
	v_cndmask_b32_e64 v167, v64, v167, s[40:41]                // 000000029574: D10000A7 00A34F40
	v_cmp_lt_u32_e64 s[40:41], v240, v65                       // 00000002957C: D0C90028 000283F0
	v_add_u32_e32 v240, 64, v240                               // 000000029584: 69E1E0C0
	s_nop 0                                                    // 000000029588: BF800000
	v_cndmask_b32_e64 v168, v64, v168, s[40:41]                // 00000002958C: D10000A8 00A35140
	v_cmp_lt_u32_e64 s[40:41], v241, v65                       // 000000029594: D0C90028 000283F1
	v_add_u32_e32 v241, 64, v241                               // 00000002959C: 69E3E2C0
	s_nop 0                                                    // 0000000295A0: BF800000
	v_cndmask_b32_e64 v169, v64, v169, s[40:41]                // 0000000295A4: D10000A9 00A35340
	v_cmp_lt_u32_e64 s[40:41], v242, v65                       // 0000000295AC: D0C90028 000283F2
	v_add_u32_e32 v242, 64, v242                               // 0000000295B4: 69E5E4C0
	s_nop 0                                                    // 0000000295B8: BF800000
	v_cndmask_b32_e64 v170, v64, v170, s[40:41]                // 0000000295BC: D10000AA 00A35540
	v_cmp_lt_u32_e64 s[40:41], v243, v65                       // 0000000295C4: D0C90028 000283F3
	v_add_u32_e32 v243, 64, v243                               // 0000000295CC: 69E7E6C0
	s_nop 0                                                    // 0000000295D0: BF800000
	v_cndmask_b32_e64 v171, v64, v171, s[40:41]                // 0000000295D4: D10000AB 00A35740
	v_cmp_lt_u32_e64 s[40:41], v240, v65                       // 0000000295DC: D0C90028 000283F0
	v_add_u32_e32 v240, 64, v240                               // 0000000295E4: 69E1E0C0
	s_nop 0                                                    // 0000000295E8: BF800000
	v_cndmask_b32_e64 v172, v64, v172, s[40:41]                // 0000000295EC: D10000AC 00A35940
	v_cmp_lt_u32_e64 s[40:41], v241, v65                       // 0000000295F4: D0C90028 000283F1
	v_add_u32_e32 v241, 64, v241                               // 0000000295FC: 69E3E2C0
	s_nop 0                                                    // 000000029600: BF800000
	v_cndmask_b32_e64 v173, v64, v173, s[40:41]                // 000000029604: D10000AD 00A35B40
	v_cmp_lt_u32_e64 s[40:41], v242, v65                       // 00000002960C: D0C90028 000283F2
	v_add_u32_e32 v242, 64, v242                               // 000000029614: 69E5E4C0
	s_nop 0                                                    // 000000029618: BF800000
	v_cndmask_b32_e64 v174, v64, v174, s[40:41]                // 00000002961C: D10000AE 00A35D40
	v_cmp_lt_u32_e64 s[40:41], v243, v65                       // 000000029624: D0C90028 000283F3
	v_add_u32_e32 v243, 64, v243                               // 00000002962C: 69E7E6C0
	s_nop 0                                                    // 000000029630: BF800000
	v_cndmask_b32_e64 v175, v64, v175, s[40:41]                // 000000029634: D10000AF 00A35F40
	v_mov_b32_e32 v48, v160                                    // 00000002963C: 7E6003A0
	v_max3_f32 v48, v160, v161, v48                            // 000000029640: D1D30030 04C343A0
	v_max3_f32 v48, v162, v163, v48                            // 000000029648: D1D30030 04C347A2
	v_max3_f32 v48, v164, v165, v48                            // 000000029650: D1D30030 04C34BA4
	v_max3_f32 v48, v166, v167, v48                            // 000000029658: D1D30030 04C34FA6
	v_max3_f32 v48, v168, v169, v48                            // 000000029660: D1D30030 04C353A8
	v_max3_f32 v48, v170, v171, v48                            // 000000029668: D1D30030 04C357AA
	v_max3_f32 v48, v172, v173, v48                            // 000000029670: D1D30030 04C35BAC
	v_max3_f32 v48, v174, v175, v48                            // 000000029678: D1D30030 04C35FAE
	ds_write_b32 v8, v48 offset:16896                          // 000000029680: D81A4200 00003008
	v_mul_f32_e32 v232, v52, v232                              // 000000029688: 0BD1D134
	v_mul_f32_e32 v233, v52, v233                              // 00000002968C: 0BD3D334
	v_mul_f32_e32 v234, v52, v234                              // 000000029690: 0BD5D534
	v_mul_f32_e32 v235, v52, v235                              // 000000029694: 0BD7D734
	v_mul_f32_e32 v236, v52, v236                              // 000000029698: 0BD9D934
	v_mul_f32_e32 v237, v52, v237                              // 00000002969C: 0BDBDB34
	v_mul_f32_e32 v238, v52, v238                              // 0000000296A0: 0BDDDD34
	v_mul_f32_e32 v239, v52, v239                              // 0000000296A4: 0BDFDF34
	s_waitcnt lgkmcnt(0)                                       // 0000000296A8: BF8CC07F
	s_barrier                                                  // 0000000296AC: BF8A0000
	ds_read_b32 v64, v7 offset:16896                           // 0000000296B0: D86C4200 40000007
	ds_read_b32 v65, v7 offset:16960                           // 0000000296B8: D86C4240 41000007
	ds_read_b32 v66, v7 offset:17024                           // 0000000296C0: D86C4280 42000007
	ds_read_b32 v67, v7 offset:17088                           // 0000000296C8: D86C42C0 43000007
	ds_read_b32 v68, v7 offset:17152                           // 0000000296D0: D86C4300 44000007
	ds_read_b32 v69, v7 offset:17216                           // 0000000296D8: D86C4340 45000007
	ds_read_b32 v70, v7 offset:17280                           // 0000000296E0: D86C4380 46000007
	ds_read_b32 v71, v7 offset:17344                           // 0000000296E8: D86C43C0 47000007
	ds_read_b32 v72, v7 offset:17408                           // 0000000296F0: D86C4400 48000007
	ds_read_b32 v73, v7 offset:17472                           // 0000000296F8: D86C4440 49000007
	ds_read_b32 v74, v7 offset:17536                           // 000000029700: D86C4480 4A000007
	ds_read_b32 v75, v7 offset:17600                           // 000000029708: D86C44C0 4B000007
	ds_read_b32 v76, v7 offset:17664                           // 000000029710: D86C4500 4C000007
	ds_read_b32 v77, v7 offset:17728                           // 000000029718: D86C4540 4D000007
	ds_read_b32 v78, v7 offset:17792                           // 000000029720: D86C4580 4E000007
	ds_read_b32 v79, v7 offset:17856                           // 000000029728: D86C45C0 4F000007
	v_cvt_f32_i32_e32 v200, v200                               // 000000029730: 7F900BC8
	v_cvt_f32_i32_e32 v201, v201                               // 000000029734: 7F920BC9
	v_cvt_f32_i32_e32 v202, v202                               // 000000029738: 7F940BCA
	v_cvt_f32_i32_e32 v203, v203                               // 00000002973C: 7F960BCB
	v_cvt_f32_i32_e32 v204, v204                               // 000000029740: 7F980BCC
	v_cvt_f32_i32_e32 v205, v205                               // 000000029744: 7F9A0BCD
	v_cvt_f32_i32_e32 v206, v206                               // 000000029748: 7F9C0BCE
	v_cvt_f32_i32_e32 v207, v207                               // 00000002974C: 7F9E0BCF
	v_mul_f32_e32 v200, v47, v200                              // 000000029750: 0B91912F
	v_mul_f32_e32 v201, v47, v201                              // 000000029754: 0B93932F
	v_mul_f32_e32 v202, v47, v202                              // 000000029758: 0B95952F
	v_mul_f32_e32 v203, v47, v203                              // 00000002975C: 0B97972F
	v_mul_f32_e32 v204, v47, v204                              // 000000029760: 0B99992F
	v_mul_f32_e32 v205, v47, v205                              // 000000029764: 0B9B9B2F
	v_mul_f32_e32 v206, v47, v206                              // 000000029768: 0B9D9D2F
	v_mul_f32_e32 v207, v47, v207                              // 00000002976C: 0B9F9F2F
	s_waitcnt lgkmcnt(0)                                       // 000000029770: BF8CC07F
	v_max3_f32 v48, v64, v65, v48                              // 000000029774: D1D30030 04C28340
	v_max3_f32 v48, v66, v67, v48                              // 00000002977C: D1D30030 04C28742
	v_max3_f32 v48, v68, v69, v48                              // 000000029784: D1D30030 04C28B44
	v_max3_f32 v48, v70, v71, v48                              // 00000002978C: D1D30030 04C28F46
	v_max3_f32 v48, v72, v73, v48                              // 000000029794: D1D30030 04C29348
	v_max3_f32 v48, v74, v75, v48                              // 00000002979C: D1D30030 04C2974A
	v_max3_f32 v48, v76, v77, v48                              // 0000000297A4: D1D30030 04C29B4C
	v_max3_f32 v48, v78, v79, v48                              // 0000000297AC: D1D30030 04C29F4E
	v_mov_b32_e32 v64, 0xff800000                              // 0000000297B4: 7E8002FF FF800000
	v_cmp_eq_u32_e64 s[40:41], v64, v14                        // 0000000297BC: D0CA0028 00021D40
	s_nop 1                                                    // 0000000297C4: BF800001
	v_max_f32_e32 v15, v48, v14                                // 0000000297C8: 161E1D30
	v_mul_f32_e32 v53, s64, v15                                // 0000000297CC: 0A6A1E40
	v_fma_f32 v160, v160, s64, -v53                            // 0000000297D0: D1CB00A0 84D481A0
	v_fma_f32 v161, v161, s64, -v53                            // 0000000297D8: D1CB00A1 84D481A1
	v_fma_f32 v162, v162, s64, -v53                            // 0000000297E0: D1CB00A2 84D481A2
	v_fma_f32 v163, v163, s64, -v53                            // 0000000297E8: D1CB00A3 84D481A3
	v_fma_f32 v164, v164, s64, -v53                            // 0000000297F0: D1CB00A4 84D481A4
	v_fma_f32 v165, v165, s64, -v53                            // 0000000297F8: D1CB00A5 84D481A5
	v_fma_f32 v166, v166, s64, -v53                            // 000000029800: D1CB00A6 84D481A6
	v_fma_f32 v167, v167, s64, -v53                            // 000000029808: D1CB00A7 84D481A7
	v_fma_f32 v168, v168, s64, -v53                            // 000000029810: D1CB00A8 84D481A8
	v_fma_f32 v169, v169, s64, -v53                            // 000000029818: D1CB00A9 84D481A9
	v_fma_f32 v170, v170, s64, -v53                            // 000000029820: D1CB00AA 84D481AA
	v_fma_f32 v171, v171, s64, -v53                            // 000000029828: D1CB00AB 84D481AB
	v_fma_f32 v172, v172, s64, -v53                            // 000000029830: D1CB00AC 84D481AC
	v_fma_f32 v173, v173, s64, -v53                            // 000000029838: D1CB00AD 84D481AD
	v_fma_f32 v174, v174, s64, -v53                            // 000000029840: D1CB00AE 84D481AE
	v_fma_f32 v175, v175, s64, -v53                            // 000000029848: D1CB00AF 84D481AF
	v_exp_f32_e32 v160, v160                                   // 000000029850: 7F4041A0
	v_exp_f32_e32 v161, v161                                   // 000000029854: 7F4241A1
	v_exp_f32_e32 v162, v162                                   // 000000029858: 7F4441A2
	v_exp_f32_e32 v163, v163                                   // 00000002985C: 7F4641A3
	v_exp_f32_e32 v164, v164                                   // 000000029860: 7F4841A4
	v_exp_f32_e32 v165, v165                                   // 000000029864: 7F4A41A5
	v_exp_f32_e32 v166, v166                                   // 000000029868: 7F4C41A6
	v_exp_f32_e32 v167, v167                                   // 00000002986C: 7F4E41A7
	v_exp_f32_e32 v168, v168                                   // 000000029870: 7F5041A8
	v_exp_f32_e32 v169, v169                                   // 000000029874: 7F5241A9
	v_exp_f32_e32 v170, v170                                   // 000000029878: 7F5441AA
	v_exp_f32_e32 v171, v171                                   // 00000002987C: 7F5641AB
	v_exp_f32_e32 v172, v172                                   // 000000029880: 7F5841AC
	v_exp_f32_e32 v173, v173                                   // 000000029884: 7F5A41AD
	v_exp_f32_e32 v174, v174                                   // 000000029888: 7F5C41AE
	v_exp_f32_e32 v175, v175                                   // 00000002988C: 7F5E41AF
	v_mul_f32_dpp v240, v252, v160 quad_perm:[0,0,0,0] row_mask:0xf bank_mask:0xf// 000000029890: 0BE140FA FF0000FC
	v_mul_f32_dpp v241, v252, v161 quad_perm:[1,1,1,1] row_mask:0xf bank_mask:0xf// 000000029898: 0BE342FA FF0055FC
	v_mul_f32_dpp v242, v252, v162 quad_perm:[2,2,2,2] row_mask:0xf bank_mask:0xf// 0000000298A0: 0BE544FA FF00AAFC
	v_mul_f32_dpp v243, v252, v163 quad_perm:[3,3,3,3] row_mask:0xf bank_mask:0xf// 0000000298A8: 0BE746FA FF00FFFC
	v_mul_f32_dpp v244, v253, v164 quad_perm:[0,0,0,0] row_mask:0xf bank_mask:0xf// 0000000298B0: 0BE948FA FF0000FD
	v_mul_f32_dpp v245, v253, v165 quad_perm:[1,1,1,1] row_mask:0xf bank_mask:0xf// 0000000298B8: 0BEB4AFA FF0055FD
	v_mul_f32_dpp v246, v253, v166 quad_perm:[2,2,2,2] row_mask:0xf bank_mask:0xf// 0000000298C0: 0BED4CFA FF00AAFD
	v_mul_f32_dpp v247, v253, v167 quad_perm:[3,3,3,3] row_mask:0xf bank_mask:0xf// 0000000298C8: 0BEF4EFA FF00FFFD
	v_mul_f32_dpp v248, v254, v168 quad_perm:[0,0,0,0] row_mask:0xf bank_mask:0xf// 0000000298D0: 0BF150FA FF0000FE
	v_mul_f32_dpp v249, v254, v169 quad_perm:[1,1,1,1] row_mask:0xf bank_mask:0xf// 0000000298D8: 0BF352FA FF0055FE
	v_mul_f32_dpp v250, v254, v170 quad_perm:[2,2,2,2] row_mask:0xf bank_mask:0xf// 0000000298E0: 0BF554FA FF00AAFE
	v_mul_f32_dpp v251, v254, v171 quad_perm:[3,3,3,3] row_mask:0xf bank_mask:0xf// 0000000298E8: 0BF756FA FF00FFFE
	v_mul_f32_dpp v252, v255, v172 quad_perm:[0,0,0,0] row_mask:0xf bank_mask:0xf// 0000000298F0: 0BF958FA FF0000FF
	v_mul_f32_dpp v253, v255, v173 quad_perm:[1,1,1,1] row_mask:0xf bank_mask:0xf// 0000000298F8: 0BFB5AFA FF0055FF
	v_mul_f32_dpp v254, v255, v174 quad_perm:[2,2,2,2] row_mask:0xf bank_mask:0xf// 000000029900: 0BFD5CFA FF00AAFF
	v_mul_f32_dpp v255, v255, v175 quad_perm:[3,3,3,3] row_mask:0xf bank_mask:0xf// 000000029908: 0BFF5EFA FF00FFFF
	v_mov_b32_e32 v48, 0x358637bd                              // 000000029910: 7E6002FF 358637BD
	v_max3_f32 v48, |v240|, |v241|, v48                        // 000000029918: D1D30330 04C3E3F0
	v_max3_f32 v48, |v242|, |v243|, v48                        // 000000029920: D1D30330 04C3E7F2
	v_max3_f32 v48, |v244|, |v245|, v48                        // 000000029928: D1D30330 04C3EBF4
	v_max3_f32 v48, |v246|, |v247|, v48                        // 000000029930: D1D30330 04C3EFF6
	v_max3_f32 v48, |v248|, |v249|, v48                        // 000000029938: D1D30330 04C3F3F8
	v_max3_f32 v48, |v250|, |v251|, v48                        // 000000029940: D1D30330 04C3F7FA
	v_max3_f32 v48, |v252|, |v253|, v48                        // 000000029948: D1D30330 04C3FBFC
	v_max3_f32 v48, |v254|, |v255|, v48                        // 000000029950: D1D30330 04C3FFFE
	ds_write_b32 v8, v48 offset:20992                          // 000000029958: D81A5200 00003008
	v_sub_f32_e32 v52, v14, v15                                // 000000029960: 04681F0E
	v_cndmask_b32_e64 v52, v52, 0, s[40:41]                    // 000000029964: D1000034 00A10134
	v_mov_b32_e32 v14, v15                                     // 00000002996C: 7E1C030F
	v_mul_f32_e32 v52, s64, v52                                // 000000029970: 0A686840
	v_exp_f32_e32 v52, v52                                     // 000000029974: 7E684134
	s_waitcnt lgkmcnt(0)                                       // 000000029978: BF8CC07F
	s_barrier                                                  // 00000002997C: BF8A0000
	ds_read_b32 v64, v7 offset:20992                           // 000000029980: D86C5200 40000007
	ds_read_b32 v65, v7 offset:21056                           // 000000029988: D86C5240 41000007
	ds_read_b32 v66, v7 offset:21120                           // 000000029990: D86C5280 42000007
	ds_read_b32 v67, v7 offset:21184                           // 000000029998: D86C52C0 43000007
	ds_read_b32 v68, v7 offset:21248                           // 0000000299A0: D86C5300 44000007
	ds_read_b32 v69, v7 offset:21312                           // 0000000299A8: D86C5340 45000007
	ds_read_b32 v70, v7 offset:21376                           // 0000000299B0: D86C5380 46000007
	ds_read_b32 v71, v7 offset:21440                           // 0000000299B8: D86C53C0 47000007
	ds_read_b32 v72, v7 offset:21504                           // 0000000299C0: D86C5400 48000007
	ds_read_b32 v73, v7 offset:21568                           // 0000000299C8: D86C5440 49000007
	ds_read_b32 v74, v7 offset:21632                           // 0000000299D0: D86C5480 4A000007
	ds_read_b32 v75, v7 offset:21696                           // 0000000299D8: D86C54C0 4B000007
	ds_read_b32 v76, v7 offset:21760                           // 0000000299E0: D86C5500 4C000007
	ds_read_b32 v77, v7 offset:21824                           // 0000000299E8: D86C5540 4D000007
	ds_read_b32 v78, v7 offset:21888                           // 0000000299F0: D86C5580 4E000007
	ds_read_b32 v79, v7 offset:21952                           // 0000000299F8: D86C55C0 4F000007
	v_mul_f32_e32 v41, v52, v41                                // 000000029A00: 0A525334
	v_mov_b32_e32 v15, v160                                    // 000000029A04: 7E1E03A0
	v_add_f32_e32 v15, v161, v15                               // 000000029A08: 021E1FA1
	v_add_f32_e32 v15, v162, v15                               // 000000029A0C: 021E1FA2
	v_add_f32_e32 v15, v163, v15                               // 000000029A10: 021E1FA3
	v_add_f32_e32 v15, v164, v15                               // 000000029A14: 021E1FA4
	v_add_f32_e32 v15, v165, v15                               // 000000029A18: 021E1FA5
	v_add_f32_e32 v15, v166, v15                               // 000000029A1C: 021E1FA6
	v_add_f32_e32 v15, v167, v15                               // 000000029A20: 021E1FA7
	v_add_f32_e32 v15, v168, v15                               // 000000029A24: 021E1FA8
	v_add_f32_e32 v15, v169, v15                               // 000000029A28: 021E1FA9
	v_add_f32_e32 v15, v170, v15                               // 000000029A2C: 021E1FAA
	v_add_f32_e32 v15, v171, v15                               // 000000029A30: 021E1FAB
	v_add_f32_e32 v15, v172, v15                               // 000000029A34: 021E1FAC
	v_add_f32_e32 v15, v173, v15                               // 000000029A38: 021E1FAD
	v_add_f32_e32 v15, v174, v15                               // 000000029A3C: 021E1FAE
	v_add_f32_e32 v15, v175, v15                               // 000000029A40: 021E1FAF
	v_add_f32_e32 v41, v15, v41                                // 000000029A44: 0252530F
	s_waitcnt lgkmcnt(0)                                       // 000000029A48: BF8CC07F
	v_max3_f32 v48, |v64|, |v65|, v48                          // 000000029A4C: D1D30330 04C28340
	v_max3_f32 v48, |v66|, |v67|, v48                          // 000000029A54: D1D30330 04C28742
	v_max3_f32 v48, |v68|, |v69|, v48                          // 000000029A5C: D1D30330 04C28B44
	v_max3_f32 v48, |v70|, |v71|, v48                          // 000000029A64: D1D30330 04C28F46
	v_max3_f32 v48, |v72|, |v73|, v48                          // 000000029A6C: D1D30330 04C29348
	v_max3_f32 v48, |v74|, |v75|, v48                          // 000000029A74: D1D30330 04C2974A
	v_max3_f32 v48, |v76|, |v77|, v48                          // 000000029A7C: D1D30330 04C29B4C
	v_max3_f32 v48, |v78|, |v79|, v48                          // 000000029A84: D1D30330 04C29F4E
	s_nop 2                                                    // 000000029A8C: BF800002
	v_rcp_f32_e32 v48, v48                                     // 000000029A90: 7E604530
	s_nop 1                                                    // 000000029A94: BF800001
	v_mul_f32_e32 v48, 0x42fe0000, v48                         // 000000029A98: 0A6060FF 42FE0000
	v_mul_f32_e32 v160, v48, v240                              // 000000029AA0: 0B41E130
	v_mul_f32_e32 v161, v48, v241                              // 000000029AA4: 0B43E330
	v_mul_f32_e32 v162, v48, v242                              // 000000029AA8: 0B45E530
	v_mul_f32_e32 v163, v48, v243                              // 000000029AAC: 0B47E730
	v_mul_f32_e32 v164, v48, v244                              // 000000029AB0: 0B49E930
	v_mul_f32_e32 v165, v48, v245                              // 000000029AB4: 0B4BEB30
	v_mul_f32_e32 v166, v48, v246                              // 000000029AB8: 0B4DED30
	v_mul_f32_e32 v167, v48, v247                              // 000000029ABC: 0B4FEF30
	v_mul_f32_e32 v168, v48, v248                              // 000000029AC0: 0B51F130
	v_mul_f32_e32 v169, v48, v249                              // 000000029AC4: 0B53F330
	v_mul_f32_e32 v170, v48, v250                              // 000000029AC8: 0B55F530
	v_mul_f32_e32 v171, v48, v251                              // 000000029ACC: 0B57F730
	v_mul_f32_e32 v172, v48, v252                              // 000000029AD0: 0B59F930
	v_mul_f32_e32 v173, v48, v253                              // 000000029AD4: 0B5BFB30
	v_mul_f32_e32 v174, v48, v254                              // 000000029AD8: 0B5DFD30
	v_mul_f32_e32 v175, v48, v255                              // 000000029ADC: 0B5FFF30
	v_cvt_i32_f32_e32 v160, v160                               // 000000029AE0: 7F4011A0
	v_cvt_i32_f32_e32 v161, v161                               // 000000029AE4: 7F4211A1
	v_cvt_i32_f32_e32 v162, v162                               // 000000029AE8: 7F4411A2
	v_cvt_i32_f32_e32 v163, v163                               // 000000029AEC: 7F4611A3
	v_cvt_i32_f32_e32 v164, v164                               // 000000029AF0: 7F4811A4
	v_cvt_i32_f32_e32 v165, v165                               // 000000029AF4: 7F4A11A5
	v_cvt_i32_f32_e32 v166, v166                               // 000000029AF8: 7F4C11A6
	v_cvt_i32_f32_e32 v167, v167                               // 000000029AFC: 7F4E11A7
	v_cvt_i32_f32_e32 v168, v168                               // 000000029B00: 7F5011A8
	v_cvt_i32_f32_e32 v169, v169                               // 000000029B04: 7F5211A9
	v_cvt_i32_f32_e32 v170, v170                               // 000000029B08: 7F5411AA
	v_cvt_i32_f32_e32 v171, v171                               // 000000029B0C: 7F5611AB
	v_cvt_i32_f32_e32 v172, v172                               // 000000029B10: 7F5811AC
	v_cvt_i32_f32_e32 v173, v173                               // 000000029B14: 7F5A11AD
	v_cvt_i32_f32_e32 v174, v174                               // 000000029B18: 7F5C11AE
	v_cvt_i32_f32_e32 v175, v175                               // 000000029B1C: 7F5E11AF
	v_perm_b32 v160, v161, v160, s53                           // 000000029B20: D1ED00A0 00D741A1
	v_perm_b32 v160, v162, v160, s54                           // 000000029B28: D1ED00A0 00DB41A2
	v_perm_b32 v160, v163, v160, s55                           // 000000029B30: D1ED00A0 00DF41A3
	v_perm_b32 v161, v165, v164, s53                           // 000000029B38: D1ED00A1 00D749A5
	v_perm_b32 v161, v166, v161, s54                           // 000000029B40: D1ED00A1 00DB43A6
	v_perm_b32 v161, v167, v161, s55                           // 000000029B48: D1ED00A1 00DF43A7
	v_perm_b32 v162, v169, v168, s53                           // 000000029B50: D1ED00A2 00D751A9
	v_perm_b32 v162, v170, v162, s54                           // 000000029B58: D1ED00A2 00DB45AA
	v_perm_b32 v162, v171, v162, s55                           // 000000029B60: D1ED00A2 00DF45AB
	v_perm_b32 v163, v173, v172, s53                           // 000000029B68: D1ED00A3 00D759AD
	v_perm_b32 v163, v174, v163, s54                           // 000000029B70: D1ED00A3 00DB47AE
	v_perm_b32 v163, v175, v163, s55                           // 000000029B78: D1ED00A3 00DF47AF
	ds_write_b32 v10, v160 offset:37376                        // 000000029B80: D81A9200 0000A00A
	ds_write_b32 v10, v161 offset:38400                        // 000000029B88: D81A9600 0000A10A
	ds_write_b32 v10, v162 offset:39424                        // 000000029B90: D81A9A00 0000A20A
	ds_write_b32 v10, v163 offset:40448                        // 000000029B98: D81A9E00 0000A30A
	v_add_f32_e32 v232, v232, v200                             // 000000029BA0: 03D191E8
	v_add_f32_e32 v233, v233, v201                             // 000000029BA4: 03D393E9
	v_add_f32_e32 v234, v234, v202                             // 000000029BA8: 03D595EA
	v_add_f32_e32 v235, v235, v203                             // 000000029BAC: 03D797EB
	v_add_f32_e32 v236, v236, v204                             // 000000029BB0: 03D999EC
	v_add_f32_e32 v237, v237, v205                             // 000000029BB4: 03DB9BED
	v_add_f32_e32 v238, v238, v206                             // 000000029BB8: 03DD9DEE
	v_add_f32_e32 v239, v239, v207                             // 000000029BBC: 03DF9FEF
	v_rcp_f32_e32 v47, v48                                     // 000000029BC0: 7E5E4530
	s_waitcnt lgkmcnt(0)                                       // 000000029BC4: BF8CC07F
	s_barrier                                                  // 000000029BC8: BF8A0000
	ds_read_b64 v[160:161], v9 offset:37376                    // 000000029BCC: D8EC9200 A0000009
	ds_read_b64 v[162:163], v9 offset:37504                    // 000000029BD4: D8EC9280 A2000009
	ds_read_b64 v[164:165], v9 offset:38400                    // 000000029BDC: D8EC9600 A4000009
	ds_read_b64 v[166:167], v9 offset:38528                    // 000000029BE4: D8EC9680 A6000009
	ds_read_b64 v[168:169], v9 offset:39424                    // 000000029BEC: D8EC9A00 A8000009
	ds_read_b64 v[170:171], v9 offset:39552                    // 000000029BF4: D8EC9A80 AA000009
	ds_read_b64 v[172:173], v9 offset:40448                    // 000000029BFC: D8EC9E00 AC000009
	ds_read_b64 v[174:175], v9 offset:40576                    // 000000029C04: D8EC9E80 AE000009
	s_waitcnt vmcnt(0)                                         // 000000029C0C: BF8C0F70
	s_barrier                                                  // 000000029C10: BF8A0000
	v_mfma_i32_16x16x32_i8 v[176:179], a[96:97], v[112:113], 0 // 000000029C14: D3D700B0 0A02E160
	v_mfma_i32_16x16x32_i8 v[176:179], a[98:99], v[114:115], v[176:179]// 000000029C1C: D3D700B0 0EC2E562
	v_mfma_i32_16x16x32_i8 v[176:179], a[100:101], v[116:117], v[176:179]// 000000029C24: D3D700B0 0EC2E964
	v_mfma_i32_16x16x32_i8 v[176:179], a[102:103], v[118:119], v[176:179]// 000000029C2C: D3D700B0 0EC2ED66
	v_mfma_i32_16x16x32_i8 v[176:179], a[104:105], v[120:121], v[176:179]// 000000029C34: D3D700B0 0EC2F168
	v_mfma_i32_16x16x32_i8 v[176:179], a[106:107], v[122:123], v[176:179]// 000000029C3C: D3D700B0 0EC2F56A
	v_mfma_i32_16x16x32_i8 v[176:179], a[108:109], v[124:125], v[176:179]// 000000029C44: D3D700B0 0EC2F96C
	v_mfma_i32_16x16x32_i8 v[176:179], a[110:111], v[126:127], v[176:179]// 000000029C4C: D3D700B0 0EC2FD6E
	v_mfma_i32_16x16x32_i8 v[180:183], a[112:113], v[112:113], 0// 000000029C54: D3D700B4 0A02E170
	v_mfma_i32_16x16x32_i8 v[180:183], a[114:115], v[114:115], v[180:183]// 000000029C5C: D3D700B4 0ED2E572
	v_mfma_i32_16x16x32_i8 v[180:183], a[116:117], v[116:117], v[180:183]// 000000029C64: D3D700B4 0ED2E974
	v_mfma_i32_16x16x32_i8 v[180:183], a[118:119], v[118:119], v[180:183]// 000000029C6C: D3D700B4 0ED2ED76
	v_mfma_i32_16x16x32_i8 v[180:183], a[120:121], v[120:121], v[180:183]// 000000029C74: D3D700B4 0ED2F178
	v_mfma_i32_16x16x32_i8 v[180:183], a[122:123], v[122:123], v[180:183]// 000000029C7C: D3D700B4 0ED2F57A
	v_mfma_i32_16x16x32_i8 v[180:183], a[124:125], v[124:125], v[180:183]// 000000029C84: D3D700B4 0ED2F97C
	v_mfma_i32_16x16x32_i8 v[180:183], a[126:127], v[126:127], v[180:183]// 000000029C8C: D3D700B4 0ED2FD7E
	v_mfma_i32_16x16x32_i8 v[184:187], a[96:97], v[128:129], 0 // 000000029C94: D3D700B8 0A030160
	v_mfma_i32_16x16x32_i8 v[184:187], a[98:99], v[130:131], v[184:187]// 000000029C9C: D3D700B8 0EE30562
	v_mfma_i32_16x16x32_i8 v[184:187], a[100:101], v[132:133], v[184:187]// 000000029CA4: D3D700B8 0EE30964
	v_mfma_i32_16x16x32_i8 v[184:187], a[102:103], v[134:135], v[184:187]// 000000029CAC: D3D700B8 0EE30D66
	v_mfma_i32_16x16x32_i8 v[184:187], a[104:105], v[136:137], v[184:187]// 000000029CB4: D3D700B8 0EE31168
	v_mfma_i32_16x16x32_i8 v[184:187], a[106:107], v[138:139], v[184:187]// 000000029CBC: D3D700B8 0EE3156A
	v_mfma_i32_16x16x32_i8 v[184:187], a[108:109], v[140:141], v[184:187]// 000000029CC4: D3D700B8 0EE3196C
	v_mfma_i32_16x16x32_i8 v[184:187], a[110:111], v[142:143], v[184:187]// 000000029CCC: D3D700B8 0EE31D6E
	v_mfma_i32_16x16x32_i8 v[188:191], a[112:113], v[128:129], 0// 000000029CD4: D3D700BC 0A030170
	v_mfma_i32_16x16x32_i8 v[188:191], a[114:115], v[130:131], v[188:191]// 000000029CDC: D3D700BC 0EF30572
	v_mfma_i32_16x16x32_i8 v[188:191], a[116:117], v[132:133], v[188:191]// 000000029CE4: D3D700BC 0EF30974
	v_mfma_i32_16x16x32_i8 v[188:191], a[118:119], v[134:135], v[188:191]// 000000029CEC: D3D700BC 0EF30D76
	v_mfma_i32_16x16x32_i8 v[188:191], a[120:121], v[136:137], v[188:191]// 000000029CF4: D3D700BC 0EF31178
	v_mfma_i32_16x16x32_i8 v[188:191], a[122:123], v[138:139], v[188:191]// 000000029CFC: D3D700BC 0EF3157A
	v_mfma_i32_16x16x32_i8 v[188:191], a[124:125], v[140:141], v[188:191]// 000000029D04: D3D700BC 0EF3197C
	v_mfma_i32_16x16x32_i8 v[188:191], a[126:127], v[142:143], v[188:191]// 000000029D0C: D3D700BC 0EF31D7E
	v_mfma_i32_16x16x32_i8 v[192:195], a[96:97], v[144:145], 0 // 000000029D14: D3D700C0 0A032160
	v_mfma_i32_16x16x32_i8 v[192:195], a[98:99], v[146:147], v[192:195]// 000000029D1C: D3D700C0 0F032562
	v_mfma_i32_16x16x32_i8 v[192:195], a[100:101], v[148:149], v[192:195]// 000000029D24: D3D700C0 0F032964
	v_mfma_i32_16x16x32_i8 v[192:195], a[102:103], v[150:151], v[192:195]// 000000029D2C: D3D700C0 0F032D66
	v_mfma_i32_16x16x32_i8 v[192:195], a[104:105], v[152:153], v[192:195]// 000000029D34: D3D700C0 0F033168
	v_mfma_i32_16x16x32_i8 v[192:195], a[106:107], v[154:155], v[192:195]// 000000029D3C: D3D700C0 0F03356A
	v_mfma_i32_16x16x32_i8 v[192:195], a[108:109], v[156:157], v[192:195]// 000000029D44: D3D700C0 0F03396C
	v_mfma_i32_16x16x32_i8 v[192:195], a[110:111], v[158:159], v[192:195]// 000000029D4C: D3D700C0 0F033D6E
	v_mfma_i32_16x16x32_i8 v[196:199], a[112:113], v[144:145], 0// 000000029D54: D3D700C4 0A032170
	v_mfma_i32_16x16x32_i8 v[196:199], a[114:115], v[146:147], v[196:199]// 000000029D5C: D3D700C4 0F132572
	v_mfma_i32_16x16x32_i8 v[196:199], a[116:117], v[148:149], v[196:199]// 000000029D64: D3D700C4 0F132974
	v_mfma_i32_16x16x32_i8 v[196:199], a[118:119], v[150:151], v[196:199]// 000000029D6C: D3D700C4 0F132D76
	v_mfma_i32_16x16x32_i8 v[196:199], a[120:121], v[152:153], v[196:199]// 000000029D74: D3D700C4 0F133178
	v_mfma_i32_16x16x32_i8 v[196:199], a[122:123], v[154:155], v[196:199]// 000000029D7C: D3D700C4 0F13357A
	v_mfma_i32_16x16x32_i8 v[196:199], a[124:125], v[156:157], v[196:199]// 000000029D84: D3D700C4 0F13397C
	v_mfma_i32_16x16x32_i8 v[196:199], a[126:127], v[158:159], v[196:199]// 000000029D8C: D3D700C4 0F133D7E
	v_mfma_i32_16x16x32_i8 v[200:203], a[96:97], v[160:161], 0 // 000000029D94: D3D700C8 0A034160
	v_mfma_i32_16x16x32_i8 v[200:203], a[98:99], v[162:163], v[200:203]// 000000029D9C: D3D700C8 0F234562
	v_mfma_i32_16x16x32_i8 v[200:203], a[100:101], v[164:165], v[200:203]// 000000029DA4: D3D700C8 0F234964
	v_mfma_i32_16x16x32_i8 v[200:203], a[102:103], v[166:167], v[200:203]// 000000029DAC: D3D700C8 0F234D66
	v_mfma_i32_16x16x32_i8 v[200:203], a[104:105], v[168:169], v[200:203]// 000000029DB4: D3D700C8 0F235168
	v_mfma_i32_16x16x32_i8 v[200:203], a[106:107], v[170:171], v[200:203]// 000000029DBC: D3D700C8 0F23556A
	v_mfma_i32_16x16x32_i8 v[200:203], a[108:109], v[172:173], v[200:203]// 000000029DC4: D3D700C8 0F23596C
	v_mfma_i32_16x16x32_i8 v[200:203], a[110:111], v[174:175], v[200:203]// 000000029DCC: D3D700C8 0F235D6E
	v_mfma_i32_16x16x32_i8 v[204:207], a[112:113], v[160:161], 0// 000000029DD4: D3D700CC 0A034170
	v_mfma_i32_16x16x32_i8 v[204:207], a[114:115], v[162:163], v[204:207]// 000000029DDC: D3D700CC 0F334572
	v_mfma_i32_16x16x32_i8 v[204:207], a[116:117], v[164:165], v[204:207]// 000000029DE4: D3D700CC 0F334974
	v_mfma_i32_16x16x32_i8 v[204:207], a[118:119], v[166:167], v[204:207]// 000000029DEC: D3D700CC 0F334D76
	v_mfma_i32_16x16x32_i8 v[204:207], a[120:121], v[168:169], v[204:207]// 000000029DF4: D3D700CC 0F335178
	v_mfma_i32_16x16x32_i8 v[204:207], a[122:123], v[170:171], v[204:207]// 000000029DFC: D3D700CC 0F33557A
	v_mfma_i32_16x16x32_i8 v[204:207], a[124:125], v[172:173], v[204:207]// 000000029E04: D3D700CC 0F33597C
	v_mfma_i32_16x16x32_i8 v[204:207], a[126:127], v[174:175], v[204:207]// 000000029E0C: D3D700CC 0F335D7E
	s_nop 4                                                    // 000000029E14: BF800004
	s_branch label_9F07                                        // 000000029E18: BF820000

0000000000029e1c <label_9F07>:
	v_mul_f32_e32 v208, v49, v208                              // 000000029E1C: 0BA1A131
	v_mul_f32_e32 v209, v49, v209                              // 000000029E20: 0BA3A331
	v_mul_f32_e32 v210, v49, v210                              // 000000029E24: 0BA5A531
	v_mul_f32_e32 v211, v49, v211                              // 000000029E28: 0BA7A731
	v_mul_f32_e32 v212, v49, v212                              // 000000029E2C: 0BA9A931
	v_mul_f32_e32 v213, v49, v213                              // 000000029E30: 0BABAB31
	v_mul_f32_e32 v214, v49, v214                              // 000000029E34: 0BADAD31
	v_mul_f32_e32 v215, v49, v215                              // 000000029E38: 0BAFAF31
	v_cvt_f32_i32_e32 v176, v176                               // 000000029E3C: 7F600BB0
	v_cvt_f32_i32_e32 v177, v177                               // 000000029E40: 7F620BB1
	v_cvt_f32_i32_e32 v178, v178                               // 000000029E44: 7F640BB2
	v_cvt_f32_i32_e32 v179, v179                               // 000000029E48: 7F660BB3
	v_cvt_f32_i32_e32 v180, v180                               // 000000029E4C: 7F680BB4
	v_cvt_f32_i32_e32 v181, v181                               // 000000029E50: 7F6A0BB5
	v_cvt_f32_i32_e32 v182, v182                               // 000000029E54: 7F6C0BB6
	v_cvt_f32_i32_e32 v183, v183                               // 000000029E58: 7F6E0BB7
	v_mul_f32_e32 v176, v44, v176                              // 000000029E5C: 0B61612C
	v_mul_f32_e32 v177, v44, v177                              // 000000029E60: 0B63632C
	v_mul_f32_e32 v178, v44, v178                              // 000000029E64: 0B65652C
	v_mul_f32_e32 v179, v44, v179                              // 000000029E68: 0B67672C
	v_mul_f32_e32 v180, v44, v180                              // 000000029E6C: 0B69692C
	v_mul_f32_e32 v181, v44, v181                              // 000000029E70: 0B6B6B2C
	v_mul_f32_e32 v182, v44, v182                              // 000000029E74: 0B6D6D2C
	v_mul_f32_e32 v183, v44, v183                              // 000000029E78: 0B6F6F2C
	v_add_f32_e32 v208, v208, v176                             // 000000029E7C: 03A161D0
	v_add_f32_e32 v209, v209, v177                             // 000000029E80: 03A363D1
	v_add_f32_e32 v210, v210, v178                             // 000000029E84: 03A565D2
	v_add_f32_e32 v211, v211, v179                             // 000000029E88: 03A767D3
	v_add_f32_e32 v212, v212, v180                             // 000000029E8C: 03A969D4
	v_add_f32_e32 v213, v213, v181                             // 000000029E90: 03AB6BD5
	v_add_f32_e32 v214, v214, v182                             // 000000029E94: 03AD6DD6
	v_add_f32_e32 v215, v215, v183                             // 000000029E98: 03AF6FD7
	ds_write_b32 v8, v38 offset:16896                          // 000000029E9C: D81A4200 00002608
	s_waitcnt lgkmcnt(0)                                       // 000000029EA4: BF8CC07F
	s_barrier                                                  // 000000029EA8: BF8A0000
	ds_read_b32 v64, v7 offset:16896                           // 000000029EAC: D86C4200 40000007
	ds_read_b32 v65, v7 offset:16960                           // 000000029EB4: D86C4240 41000007
	ds_read_b32 v66, v7 offset:17024                           // 000000029EBC: D86C4280 42000007
	ds_read_b32 v67, v7 offset:17088                           // 000000029EC4: D86C42C0 43000007
	ds_read_b32 v68, v7 offset:17152                           // 000000029ECC: D86C4300 44000007
	ds_read_b32 v69, v7 offset:17216                           // 000000029ED4: D86C4340 45000007
	ds_read_b32 v70, v7 offset:17280                           // 000000029EDC: D86C4380 46000007
	ds_read_b32 v71, v7 offset:17344                           // 000000029EE4: D86C43C0 47000007
	ds_read_b32 v72, v7 offset:17408                           // 000000029EEC: D86C4400 48000007
	ds_read_b32 v73, v7 offset:17472                           // 000000029EF4: D86C4440 49000007
	ds_read_b32 v74, v7 offset:17536                           // 000000029EFC: D86C4480 4A000007
	ds_read_b32 v75, v7 offset:17600                           // 000000029F04: D86C44C0 4B000007
	ds_read_b32 v76, v7 offset:17664                           // 000000029F0C: D86C4500 4C000007
	ds_read_b32 v77, v7 offset:17728                           // 000000029F14: D86C4540 4D000007
	ds_read_b32 v78, v7 offset:17792                           // 000000029F1C: D86C4580 4E000007
	ds_read_b32 v79, v7 offset:17856                           // 000000029F24: D86C45C0 4F000007
	s_waitcnt lgkmcnt(0)                                       // 000000029F2C: BF8CC07F
	v_mov_b32_e32 v38, 0                                       // 000000029F30: 7E4C0280
	v_add_f32_e32 v38, v64, v38                                // 000000029F34: 024C4D40
	v_add_f32_e32 v38, v65, v38                                // 000000029F38: 024C4D41
	v_add_f32_e32 v38, v66, v38                                // 000000029F3C: 024C4D42
	v_add_f32_e32 v38, v67, v38                                // 000000029F40: 024C4D43
	v_add_f32_e32 v38, v68, v38                                // 000000029F44: 024C4D44
	v_add_f32_e32 v38, v69, v38                                // 000000029F48: 024C4D45
	v_add_f32_e32 v38, v70, v38                                // 000000029F4C: 024C4D46
	v_add_f32_e32 v38, v71, v38                                // 000000029F50: 024C4D47
	v_add_f32_e32 v38, v72, v38                                // 000000029F54: 024C4D48
	v_add_f32_e32 v38, v73, v38                                // 000000029F58: 024C4D49
	v_add_f32_e32 v38, v74, v38                                // 000000029F5C: 024C4D4A
	v_add_f32_e32 v38, v75, v38                                // 000000029F60: 024C4D4B
	v_add_f32_e32 v38, v76, v38                                // 000000029F64: 024C4D4C
	v_add_f32_e32 v38, v77, v38                                // 000000029F68: 024C4D4D
	v_add_f32_e32 v38, v78, v38                                // 000000029F6C: 024C4D4E
	v_add_f32_e32 v38, v79, v38                                // 000000029F70: 024C4D4F
	s_nop 1                                                    // 000000029F74: BF800001
	v_rcp_f32_e32 v38, v38                                     // 000000029F78: 7E4C4526
	s_nop 1                                                    // 000000029F7C: BF800001
	v_mul_f32_e32 v208, v38, v208                              // 000000029F80: 0BA1A126
	v_mul_f32_e32 v209, v38, v209                              // 000000029F84: 0BA3A326
	v_mul_f32_e32 v210, v38, v210                              // 000000029F88: 0BA5A526
	v_mul_f32_e32 v211, v38, v211                              // 000000029F8C: 0BA7A726
	v_mul_f32_e32 v212, v38, v212                              // 000000029F90: 0BA9A926
	v_mul_f32_e32 v213, v38, v213                              // 000000029F94: 0BABAB26
	v_mul_f32_e32 v214, v38, v214                              // 000000029F98: 0BADAD26
	v_mul_f32_e32 v215, v38, v215                              // 000000029F9C: 0BAFAF26
	v_mov_b32_e32 v19, 0xffff0000                              // 000000029FA0: 7E2602FF FFFF0000
	v_mov_b32_e32 v20, 0x7fff0000                              // 000000029FA8: 7E2802FF 7FFF0000
	v_mov_b32_e32 v21, 0x7fff                                  // 000000029FB0: 7E2A02FF 00007FFF
	v_cmp_u_f32_e64 s[40:41], v208, v208                       // 000000029FB8: D0480028 0003A1D0
	v_add3_u32 v18, v208, v21, 1                               // 000000029FC0: D1FF0012 02062BD0
	v_cndmask_b32_e64 v64, v18, v20, s[40:41]                  // 000000029FC8: D1000040 00A22912
	v_cmp_u_f32_e64 s[40:41], v209, v209                       // 000000029FD0: D0480028 0003A3D1
	v_add3_u32 v18, v209, v21, 1                               // 000000029FD8: D1FF0012 02062BD1
	v_cndmask_b32_e64 v65, v18, v20, s[40:41]                  // 000000029FE0: D1000041 00A22912
	v_perm_b32 v208, v65, v64, s52                             // 000000029FE8: D1ED00D0 00D28141
	v_cmp_u_f32_e64 s[40:41], v210, v210                       // 000000029FF0: D0480028 0003A5D2
	v_add3_u32 v18, v210, v21, 1                               // 000000029FF8: D1FF0012 02062BD2
	v_cndmask_b32_e64 v64, v18, v20, s[40:41]                  // 00000002A000: D1000040 00A22912
	v_cmp_u_f32_e64 s[40:41], v211, v211                       // 00000002A008: D0480028 0003A7D3
	v_add3_u32 v18, v211, v21, 1                               // 00000002A010: D1FF0012 02062BD3
	v_cndmask_b32_e64 v65, v18, v20, s[40:41]                  // 00000002A018: D1000041 00A22912
	v_perm_b32 v209, v65, v64, s52                             // 00000002A020: D1ED00D1 00D28141
	v_cmp_u_f32_e64 s[40:41], v212, v212                       // 00000002A028: D0480028 0003A9D4
	v_add3_u32 v18, v212, v21, 1                               // 00000002A030: D1FF0012 02062BD4
	v_cndmask_b32_e64 v64, v18, v20, s[40:41]                  // 00000002A038: D1000040 00A22912
	v_cmp_u_f32_e64 s[40:41], v213, v213                       // 00000002A040: D0480028 0003ABD5
	v_add3_u32 v18, v213, v21, 1                               // 00000002A048: D1FF0012 02062BD5
	v_cndmask_b32_e64 v65, v18, v20, s[40:41]                  // 00000002A050: D1000041 00A22912
	v_perm_b32 v210, v65, v64, s52                             // 00000002A058: D1ED00D2 00D28141
	v_cmp_u_f32_e64 s[40:41], v214, v214                       // 00000002A060: D0480028 0003ADD6
	v_add3_u32 v18, v214, v21, 1                               // 00000002A068: D1FF0012 02062BD6
	v_cndmask_b32_e64 v64, v18, v20, s[40:41]                  // 00000002A070: D1000040 00A22912
	v_cmp_u_f32_e64 s[40:41], v215, v215                       // 00000002A078: D0480028 0003AFD7
	v_add3_u32 v18, v215, v21, 1                               // 00000002A080: D1FF0012 02062BD7
	v_cndmask_b32_e64 v65, v18, v20, s[40:41]                  // 00000002A088: D1000041 00A22912
	v_perm_b32 v211, v65, v64, s52                             // 00000002A090: D1ED00D3 00D28141
	s_nop 1                                                    // 00000002A098: BF800001
	v_lshrrev_b32_e32 v64, 4, v0                               // 00000002A09C: 20800084
	v_mul_i32_i24_e32 v68, 34, v64                             // 00000002A0A0: 0C8880A2
	v_and_b32_e32 v64, 15, v0                                  // 00000002A0A4: 2680008F
	v_mul_i32_i24_e32 v65, 2, v64                              // 00000002A0A8: 0C828082
	v_add_u32_e32 v68, v65, v68                                // 00000002A0AC: 68888941
	s_mul_i32 s60, s7, 0x88                                    // 00000002A0B0: 923CFF07 00000088
	v_add_u32_e32 v68, s60, v68                                // 00000002A0B8: 6888883C
	v_lshlrev_b32_e32 v68, 2, v68                              // 00000002A0BC: 24888882
	ds_write_b64 v68, v[208:209] offset:41472                  // 00000002A0C0: D89AA200 0000D044
	ds_write_b64 v68, v[210:211] offset:43648                  // 00000002A0C8: D89AAA80 0000D244
	v_lshrrev_b32_e32 v64, 1, v0                               // 00000002A0D0: 20800081
	v_mul_i32_i24_e32 v68, 34, v64                             // 00000002A0D4: 0C8880A2
	v_and_b32_e32 v65, 1, v0                                   // 00000002A0D8: 26820081
	v_add_u32_e32 v68, v65, v68                                // 00000002A0DC: 68888941
	s_mul_i32 s60, s7, 2                                       // 00000002A0E0: 923C8207
	v_add_u32_e32 v68, s60, v68                                // 00000002A0E4: 6888883C
	v_lshlrev_b32_e32 v68, 2, v68                              // 00000002A0E8: 24888882
	s_waitcnt lgkmcnt(0)                                       // 00000002A0EC: BF8CC07F
	s_barrier                                                  // 00000002A0F0: BF8A0000
	ds_read_b32 v208, v68 offset:41472                         // 00000002A0F4: D86CA200 D0000044
	ds_read_b32 v209, v68 offset:41504                         // 00000002A0FC: D86CA220 D1000044
	ds_read_b32 v210, v68 offset:41536                         // 00000002A104: D86CA240 D2000044
	ds_read_b32 v211, v68 offset:41568                         // 00000002A10C: D86CA260 D3000044
	s_mul_i32 s60, s7, 0x100                                   // 00000002A114: 923CFF07 00000100
	v_lshlrev_b32_e32 v64, 2, v0                               // 00000002A11C: 24800082
	v_add_u32_e64 v64, v64, s60                                // 00000002A120: D1340040 00007940
	s_waitcnt lgkmcnt(0)                                       // 00000002A128: BF8CC07F
	buffer_store_dword v208, v64, s[8:11], 0 offen             // 00000002A12C: E0701000 8002D040
	buffer_store_dword v209, v64, s[8:11], 0 offen offset:1024 // 00000002A134: E0701400 8002D140
	buffer_store_dword v210, v64, s[8:11], 0 offen offset:2048 // 00000002A13C: E0701800 8002D240
	buffer_store_dword v211, v64, s[8:11], 0 offen offset:3072 // 00000002A144: E0701C00 8002D340
	s_add_u32 s8, s75, s8                                      // 00000002A14C: 8008084B
	s_addc_u32 s9, 0, s9                                       // 00000002A150: 82090980
	v_mul_f32_e32 v216, v50, v216                              // 00000002A154: 0BB1B132
	v_mul_f32_e32 v217, v50, v217                              // 00000002A158: 0BB3B332
	v_mul_f32_e32 v218, v50, v218                              // 00000002A15C: 0BB5B532
	v_mul_f32_e32 v219, v50, v219                              // 00000002A160: 0BB7B732
	v_mul_f32_e32 v220, v50, v220                              // 00000002A164: 0BB9B932
	v_mul_f32_e32 v221, v50, v221                              // 00000002A168: 0BBBBB32
	v_mul_f32_e32 v222, v50, v222                              // 00000002A16C: 0BBDBD32
	v_mul_f32_e32 v223, v50, v223                              // 00000002A170: 0BBFBF32
	v_cvt_f32_i32_e32 v184, v184                               // 00000002A174: 7F700BB8
	v_cvt_f32_i32_e32 v185, v185                               // 00000002A178: 7F720BB9
	v_cvt_f32_i32_e32 v186, v186                               // 00000002A17C: 7F740BBA
	v_cvt_f32_i32_e32 v187, v187                               // 00000002A180: 7F760BBB
	v_cvt_f32_i32_e32 v188, v188                               // 00000002A184: 7F780BBC
	v_cvt_f32_i32_e32 v189, v189                               // 00000002A188: 7F7A0BBD
	v_cvt_f32_i32_e32 v190, v190                               // 00000002A18C: 7F7C0BBE
	v_cvt_f32_i32_e32 v191, v191                               // 00000002A190: 7F7E0BBF
	v_mul_f32_e32 v184, v45, v184                              // 00000002A194: 0B71712D
	v_mul_f32_e32 v185, v45, v185                              // 00000002A198: 0B73732D
	v_mul_f32_e32 v186, v45, v186                              // 00000002A19C: 0B75752D
	v_mul_f32_e32 v187, v45, v187                              // 00000002A1A0: 0B77772D
	v_mul_f32_e32 v188, v45, v188                              // 00000002A1A4: 0B79792D
	v_mul_f32_e32 v189, v45, v189                              // 00000002A1A8: 0B7B7B2D
	v_mul_f32_e32 v190, v45, v190                              // 00000002A1AC: 0B7D7D2D
	v_mul_f32_e32 v191, v45, v191                              // 00000002A1B0: 0B7F7F2D
	v_add_f32_e32 v216, v216, v184                             // 00000002A1B4: 03B171D8
	v_add_f32_e32 v217, v217, v185                             // 00000002A1B8: 03B373D9
	v_add_f32_e32 v218, v218, v186                             // 00000002A1BC: 03B575DA
	v_add_f32_e32 v219, v219, v187                             // 00000002A1C0: 03B777DB
	v_add_f32_e32 v220, v220, v188                             // 00000002A1C4: 03B979DC
	v_add_f32_e32 v221, v221, v189                             // 00000002A1C8: 03BB7BDD
	v_add_f32_e32 v222, v222, v190                             // 00000002A1CC: 03BD7DDE
	v_add_f32_e32 v223, v223, v191                             // 00000002A1D0: 03BF7FDF
	ds_write_b32 v8, v39 offset:16896                          // 00000002A1D4: D81A4200 00002708
	s_waitcnt lgkmcnt(0)                                       // 00000002A1DC: BF8CC07F
	s_barrier                                                  // 00000002A1E0: BF8A0000
	ds_read_b32 v64, v7 offset:16896                           // 00000002A1E4: D86C4200 40000007
	ds_read_b32 v65, v7 offset:16960                           // 00000002A1EC: D86C4240 41000007
	ds_read_b32 v66, v7 offset:17024                           // 00000002A1F4: D86C4280 42000007
	ds_read_b32 v67, v7 offset:17088                           // 00000002A1FC: D86C42C0 43000007
	ds_read_b32 v68, v7 offset:17152                           // 00000002A204: D86C4300 44000007
	ds_read_b32 v69, v7 offset:17216                           // 00000002A20C: D86C4340 45000007
	ds_read_b32 v70, v7 offset:17280                           // 00000002A214: D86C4380 46000007
	ds_read_b32 v71, v7 offset:17344                           // 00000002A21C: D86C43C0 47000007
	ds_read_b32 v72, v7 offset:17408                           // 00000002A224: D86C4400 48000007
	ds_read_b32 v73, v7 offset:17472                           // 00000002A22C: D86C4440 49000007
	ds_read_b32 v74, v7 offset:17536                           // 00000002A234: D86C4480 4A000007
	ds_read_b32 v75, v7 offset:17600                           // 00000002A23C: D86C44C0 4B000007
	ds_read_b32 v76, v7 offset:17664                           // 00000002A244: D86C4500 4C000007
	ds_read_b32 v77, v7 offset:17728                           // 00000002A24C: D86C4540 4D000007
	ds_read_b32 v78, v7 offset:17792                           // 00000002A254: D86C4580 4E000007
	ds_read_b32 v79, v7 offset:17856                           // 00000002A25C: D86C45C0 4F000007
	s_waitcnt lgkmcnt(0)                                       // 00000002A264: BF8CC07F
	v_mov_b32_e32 v39, 0                                       // 00000002A268: 7E4E0280
	v_add_f32_e32 v39, v64, v39                                // 00000002A26C: 024E4F40
	v_add_f32_e32 v39, v65, v39                                // 00000002A270: 024E4F41
	v_add_f32_e32 v39, v66, v39                                // 00000002A274: 024E4F42
	v_add_f32_e32 v39, v67, v39                                // 00000002A278: 024E4F43
	v_add_f32_e32 v39, v68, v39                                // 00000002A27C: 024E4F44
	v_add_f32_e32 v39, v69, v39                                // 00000002A280: 024E4F45
	v_add_f32_e32 v39, v70, v39                                // 00000002A284: 024E4F46
	v_add_f32_e32 v39, v71, v39                                // 00000002A288: 024E4F47
	v_add_f32_e32 v39, v72, v39                                // 00000002A28C: 024E4F48
	v_add_f32_e32 v39, v73, v39                                // 00000002A290: 024E4F49
	v_add_f32_e32 v39, v74, v39                                // 00000002A294: 024E4F4A
	v_add_f32_e32 v39, v75, v39                                // 00000002A298: 024E4F4B
	v_add_f32_e32 v39, v76, v39                                // 00000002A29C: 024E4F4C
	v_add_f32_e32 v39, v77, v39                                // 00000002A2A0: 024E4F4D
	v_add_f32_e32 v39, v78, v39                                // 00000002A2A4: 024E4F4E
	v_add_f32_e32 v39, v79, v39                                // 00000002A2A8: 024E4F4F
	s_nop 1                                                    // 00000002A2AC: BF800001
	v_rcp_f32_e32 v39, v39                                     // 00000002A2B0: 7E4E4527
	s_nop 1                                                    // 00000002A2B4: BF800001
	v_mul_f32_e32 v216, v39, v216                              // 00000002A2B8: 0BB1B127
	v_mul_f32_e32 v217, v39, v217                              // 00000002A2BC: 0BB3B327
	v_mul_f32_e32 v218, v39, v218                              // 00000002A2C0: 0BB5B527
	v_mul_f32_e32 v219, v39, v219                              // 00000002A2C4: 0BB7B727
	v_mul_f32_e32 v220, v39, v220                              // 00000002A2C8: 0BB9B927
	v_mul_f32_e32 v221, v39, v221                              // 00000002A2CC: 0BBBBB27
	v_mul_f32_e32 v222, v39, v222                              // 00000002A2D0: 0BBDBD27
	v_mul_f32_e32 v223, v39, v223                              // 00000002A2D4: 0BBFBF27
	v_mov_b32_e32 v19, 0xffff0000                              // 00000002A2D8: 7E2602FF FFFF0000
	v_mov_b32_e32 v20, 0x7fff0000                              // 00000002A2E0: 7E2802FF 7FFF0000
	v_mov_b32_e32 v21, 0x7fff                                  // 00000002A2E8: 7E2A02FF 00007FFF
	v_cmp_u_f32_e64 s[40:41], v216, v216                       // 00000002A2F0: D0480028 0003B1D8
	v_add3_u32 v18, v216, v21, 1                               // 00000002A2F8: D1FF0012 02062BD8
	v_cndmask_b32_e64 v64, v18, v20, s[40:41]                  // 00000002A300: D1000040 00A22912
	v_cmp_u_f32_e64 s[40:41], v217, v217                       // 00000002A308: D0480028 0003B3D9
	v_add3_u32 v18, v217, v21, 1                               // 00000002A310: D1FF0012 02062BD9
	v_cndmask_b32_e64 v65, v18, v20, s[40:41]                  // 00000002A318: D1000041 00A22912
	v_perm_b32 v216, v65, v64, s52                             // 00000002A320: D1ED00D8 00D28141
	v_cmp_u_f32_e64 s[40:41], v218, v218                       // 00000002A328: D0480028 0003B5DA
	v_add3_u32 v18, v218, v21, 1                               // 00000002A330: D1FF0012 02062BDA
	v_cndmask_b32_e64 v64, v18, v20, s[40:41]                  // 00000002A338: D1000040 00A22912
	v_cmp_u_f32_e64 s[40:41], v219, v219                       // 00000002A340: D0480028 0003B7DB
	v_add3_u32 v18, v219, v21, 1                               // 00000002A348: D1FF0012 02062BDB
	v_cndmask_b32_e64 v65, v18, v20, s[40:41]                  // 00000002A350: D1000041 00A22912
	v_perm_b32 v217, v65, v64, s52                             // 00000002A358: D1ED00D9 00D28141
	v_cmp_u_f32_e64 s[40:41], v220, v220                       // 00000002A360: D0480028 0003B9DC
	v_add3_u32 v18, v220, v21, 1                               // 00000002A368: D1FF0012 02062BDC
	v_cndmask_b32_e64 v64, v18, v20, s[40:41]                  // 00000002A370: D1000040 00A22912
	v_cmp_u_f32_e64 s[40:41], v221, v221                       // 00000002A378: D0480028 0003BBDD
	v_add3_u32 v18, v221, v21, 1                               // 00000002A380: D1FF0012 02062BDD
	v_cndmask_b32_e64 v65, v18, v20, s[40:41]                  // 00000002A388: D1000041 00A22912
	v_perm_b32 v218, v65, v64, s52                             // 00000002A390: D1ED00DA 00D28141
	v_cmp_u_f32_e64 s[40:41], v222, v222                       // 00000002A398: D0480028 0003BDDE
	v_add3_u32 v18, v222, v21, 1                               // 00000002A3A0: D1FF0012 02062BDE
	v_cndmask_b32_e64 v64, v18, v20, s[40:41]                  // 00000002A3A8: D1000040 00A22912
	v_cmp_u_f32_e64 s[40:41], v223, v223                       // 00000002A3B0: D0480028 0003BFDF
	v_add3_u32 v18, v223, v21, 1                               // 00000002A3B8: D1FF0012 02062BDF
	v_cndmask_b32_e64 v65, v18, v20, s[40:41]                  // 00000002A3C0: D1000041 00A22912
	v_perm_b32 v219, v65, v64, s52                             // 00000002A3C8: D1ED00DB 00D28141
	s_nop 1                                                    // 00000002A3D0: BF800001
	v_lshrrev_b32_e32 v64, 4, v0                               // 00000002A3D4: 20800084
	v_mul_i32_i24_e32 v68, 34, v64                             // 00000002A3D8: 0C8880A2
	v_and_b32_e32 v64, 15, v0                                  // 00000002A3DC: 2680008F
	v_mul_i32_i24_e32 v65, 2, v64                              // 00000002A3E0: 0C828082
	v_add_u32_e32 v68, v65, v68                                // 00000002A3E4: 68888941
	s_mul_i32 s60, s7, 0x88                                    // 00000002A3E8: 923CFF07 00000088
	v_add_u32_e32 v68, s60, v68                                // 00000002A3F0: 6888883C
	v_lshlrev_b32_e32 v68, 2, v68                              // 00000002A3F4: 24888882
	ds_write_b64 v68, v[216:217] offset:41472                  // 00000002A3F8: D89AA200 0000D844
	ds_write_b64 v68, v[218:219] offset:43648                  // 00000002A400: D89AAA80 0000DA44
	v_lshrrev_b32_e32 v64, 1, v0                               // 00000002A408: 20800081
	v_mul_i32_i24_e32 v68, 34, v64                             // 00000002A40C: 0C8880A2
	v_and_b32_e32 v65, 1, v0                                   // 00000002A410: 26820081
	v_add_u32_e32 v68, v65, v68                                // 00000002A414: 68888941
	s_mul_i32 s60, s7, 2                                       // 00000002A418: 923C8207
	v_add_u32_e32 v68, s60, v68                                // 00000002A41C: 6888883C
	v_lshlrev_b32_e32 v68, 2, v68                              // 00000002A420: 24888882
	s_waitcnt lgkmcnt(0)                                       // 00000002A424: BF8CC07F
	s_barrier                                                  // 00000002A428: BF8A0000
	ds_read_b32 v216, v68 offset:41472                         // 00000002A42C: D86CA200 D8000044
	ds_read_b32 v217, v68 offset:41504                         // 00000002A434: D86CA220 D9000044
	ds_read_b32 v218, v68 offset:41536                         // 00000002A43C: D86CA240 DA000044
	ds_read_b32 v219, v68 offset:41568                         // 00000002A444: D86CA260 DB000044
	s_mul_i32 s60, s7, 0x100                                   // 00000002A44C: 923CFF07 00000100
	v_lshlrev_b32_e32 v64, 2, v0                               // 00000002A454: 24800082
	v_add_u32_e64 v64, v64, s60                                // 00000002A458: D1340040 00007940
	s_waitcnt lgkmcnt(0)                                       // 00000002A460: BF8CC07F
	buffer_store_dword v216, v64, s[8:11], 0 offen             // 00000002A464: E0701000 8002D840
	buffer_store_dword v217, v64, s[8:11], 0 offen offset:1024 // 00000002A46C: E0701400 8002D940
	buffer_store_dword v218, v64, s[8:11], 0 offen offset:2048 // 00000002A474: E0701800 8002DA40
	buffer_store_dword v219, v64, s[8:11], 0 offen offset:3072 // 00000002A47C: E0701C00 8002DB40
	s_add_u32 s8, s75, s8                                      // 00000002A484: 8008084B
	s_addc_u32 s9, 0, s9                                       // 00000002A488: 82090980
	v_mul_f32_e32 v224, v51, v224                              // 00000002A48C: 0BC1C133
	v_mul_f32_e32 v225, v51, v225                              // 00000002A490: 0BC3C333
	v_mul_f32_e32 v226, v51, v226                              // 00000002A494: 0BC5C533
	v_mul_f32_e32 v227, v51, v227                              // 00000002A498: 0BC7C733
	v_mul_f32_e32 v228, v51, v228                              // 00000002A49C: 0BC9C933
	v_mul_f32_e32 v229, v51, v229                              // 00000002A4A0: 0BCBCB33
	v_mul_f32_e32 v230, v51, v230                              // 00000002A4A4: 0BCDCD33
	v_mul_f32_e32 v231, v51, v231                              // 00000002A4A8: 0BCFCF33
	v_cvt_f32_i32_e32 v192, v192                               // 00000002A4AC: 7F800BC0
	v_cvt_f32_i32_e32 v193, v193                               // 00000002A4B0: 7F820BC1
	v_cvt_f32_i32_e32 v194, v194                               // 00000002A4B4: 7F840BC2
	v_cvt_f32_i32_e32 v195, v195                               // 00000002A4B8: 7F860BC3
	v_cvt_f32_i32_e32 v196, v196                               // 00000002A4BC: 7F880BC4
	v_cvt_f32_i32_e32 v197, v197                               // 00000002A4C0: 7F8A0BC5
	v_cvt_f32_i32_e32 v198, v198                               // 00000002A4C4: 7F8C0BC6
	v_cvt_f32_i32_e32 v199, v199                               // 00000002A4C8: 7F8E0BC7
	v_mul_f32_e32 v192, v46, v192                              // 00000002A4CC: 0B81812E
	v_mul_f32_e32 v193, v46, v193                              // 00000002A4D0: 0B83832E
	v_mul_f32_e32 v194, v46, v194                              // 00000002A4D4: 0B85852E
	v_mul_f32_e32 v195, v46, v195                              // 00000002A4D8: 0B87872E
	v_mul_f32_e32 v196, v46, v196                              // 00000002A4DC: 0B89892E
	v_mul_f32_e32 v197, v46, v197                              // 00000002A4E0: 0B8B8B2E
	v_mul_f32_e32 v198, v46, v198                              // 00000002A4E4: 0B8D8D2E
	v_mul_f32_e32 v199, v46, v199                              // 00000002A4E8: 0B8F8F2E
	v_add_f32_e32 v224, v224, v192                             // 00000002A4EC: 03C181E0
	v_add_f32_e32 v225, v225, v193                             // 00000002A4F0: 03C383E1
	v_add_f32_e32 v226, v226, v194                             // 00000002A4F4: 03C585E2
	v_add_f32_e32 v227, v227, v195                             // 00000002A4F8: 03C787E3
	v_add_f32_e32 v228, v228, v196                             // 00000002A4FC: 03C989E4
	v_add_f32_e32 v229, v229, v197                             // 00000002A500: 03CB8BE5
	v_add_f32_e32 v230, v230, v198                             // 00000002A504: 03CD8DE6
	v_add_f32_e32 v231, v231, v199                             // 00000002A508: 03CF8FE7
	ds_write_b32 v8, v40 offset:16896                          // 00000002A50C: D81A4200 00002808
	s_waitcnt lgkmcnt(0)                                       // 00000002A514: BF8CC07F
	s_barrier                                                  // 00000002A518: BF8A0000
	ds_read_b32 v64, v7 offset:16896                           // 00000002A51C: D86C4200 40000007
	ds_read_b32 v65, v7 offset:16960                           // 00000002A524: D86C4240 41000007
	ds_read_b32 v66, v7 offset:17024                           // 00000002A52C: D86C4280 42000007
	ds_read_b32 v67, v7 offset:17088                           // 00000002A534: D86C42C0 43000007
	ds_read_b32 v68, v7 offset:17152                           // 00000002A53C: D86C4300 44000007
	ds_read_b32 v69, v7 offset:17216                           // 00000002A544: D86C4340 45000007
	ds_read_b32 v70, v7 offset:17280                           // 00000002A54C: D86C4380 46000007
	ds_read_b32 v71, v7 offset:17344                           // 00000002A554: D86C43C0 47000007
	ds_read_b32 v72, v7 offset:17408                           // 00000002A55C: D86C4400 48000007
	ds_read_b32 v73, v7 offset:17472                           // 00000002A564: D86C4440 49000007
	ds_read_b32 v74, v7 offset:17536                           // 00000002A56C: D86C4480 4A000007
	ds_read_b32 v75, v7 offset:17600                           // 00000002A574: D86C44C0 4B000007
	ds_read_b32 v76, v7 offset:17664                           // 00000002A57C: D86C4500 4C000007
	ds_read_b32 v77, v7 offset:17728                           // 00000002A584: D86C4540 4D000007
	ds_read_b32 v78, v7 offset:17792                           // 00000002A58C: D86C4580 4E000007
	ds_read_b32 v79, v7 offset:17856                           // 00000002A594: D86C45C0 4F000007
	s_waitcnt lgkmcnt(0)                                       // 00000002A59C: BF8CC07F
	v_mov_b32_e32 v40, 0                                       // 00000002A5A0: 7E500280
	v_add_f32_e32 v40, v64, v40                                // 00000002A5A4: 02505140
	v_add_f32_e32 v40, v65, v40                                // 00000002A5A8: 02505141
	v_add_f32_e32 v40, v66, v40                                // 00000002A5AC: 02505142
	v_add_f32_e32 v40, v67, v40                                // 00000002A5B0: 02505143
	v_add_f32_e32 v40, v68, v40                                // 00000002A5B4: 02505144
	v_add_f32_e32 v40, v69, v40                                // 00000002A5B8: 02505145
	v_add_f32_e32 v40, v70, v40                                // 00000002A5BC: 02505146
	v_add_f32_e32 v40, v71, v40                                // 00000002A5C0: 02505147
	v_add_f32_e32 v40, v72, v40                                // 00000002A5C4: 02505148
	v_add_f32_e32 v40, v73, v40                                // 00000002A5C8: 02505149
	v_add_f32_e32 v40, v74, v40                                // 00000002A5CC: 0250514A
	v_add_f32_e32 v40, v75, v40                                // 00000002A5D0: 0250514B
	v_add_f32_e32 v40, v76, v40                                // 00000002A5D4: 0250514C
	v_add_f32_e32 v40, v77, v40                                // 00000002A5D8: 0250514D
	v_add_f32_e32 v40, v78, v40                                // 00000002A5DC: 0250514E
	v_add_f32_e32 v40, v79, v40                                // 00000002A5E0: 0250514F
	s_nop 1                                                    // 00000002A5E4: BF800001
	v_rcp_f32_e32 v40, v40                                     // 00000002A5E8: 7E504528
	s_nop 1                                                    // 00000002A5EC: BF800001
	v_mul_f32_e32 v224, v40, v224                              // 00000002A5F0: 0BC1C128
	v_mul_f32_e32 v225, v40, v225                              // 00000002A5F4: 0BC3C328
	v_mul_f32_e32 v226, v40, v226                              // 00000002A5F8: 0BC5C528
	v_mul_f32_e32 v227, v40, v227                              // 00000002A5FC: 0BC7C728
	v_mul_f32_e32 v228, v40, v228                              // 00000002A600: 0BC9C928
	v_mul_f32_e32 v229, v40, v229                              // 00000002A604: 0BCBCB28
	v_mul_f32_e32 v230, v40, v230                              // 00000002A608: 0BCDCD28
	v_mul_f32_e32 v231, v40, v231                              // 00000002A60C: 0BCFCF28
	v_mov_b32_e32 v19, 0xffff0000                              // 00000002A610: 7E2602FF FFFF0000
	v_mov_b32_e32 v20, 0x7fff0000                              // 00000002A618: 7E2802FF 7FFF0000
	v_mov_b32_e32 v21, 0x7fff                                  // 00000002A620: 7E2A02FF 00007FFF
	v_cmp_u_f32_e64 s[40:41], v224, v224                       // 00000002A628: D0480028 0003C1E0
	v_add3_u32 v18, v224, v21, 1                               // 00000002A630: D1FF0012 02062BE0
	v_cndmask_b32_e64 v64, v18, v20, s[40:41]                  // 00000002A638: D1000040 00A22912
	v_cmp_u_f32_e64 s[40:41], v225, v225                       // 00000002A640: D0480028 0003C3E1
	v_add3_u32 v18, v225, v21, 1                               // 00000002A648: D1FF0012 02062BE1
	v_cndmask_b32_e64 v65, v18, v20, s[40:41]                  // 00000002A650: D1000041 00A22912
	v_perm_b32 v224, v65, v64, s52                             // 00000002A658: D1ED00E0 00D28141
	v_cmp_u_f32_e64 s[40:41], v226, v226                       // 00000002A660: D0480028 0003C5E2
	v_add3_u32 v18, v226, v21, 1                               // 00000002A668: D1FF0012 02062BE2
	v_cndmask_b32_e64 v64, v18, v20, s[40:41]                  // 00000002A670: D1000040 00A22912
	v_cmp_u_f32_e64 s[40:41], v227, v227                       // 00000002A678: D0480028 0003C7E3
	v_add3_u32 v18, v227, v21, 1                               // 00000002A680: D1FF0012 02062BE3
	v_cndmask_b32_e64 v65, v18, v20, s[40:41]                  // 00000002A688: D1000041 00A22912
	v_perm_b32 v225, v65, v64, s52                             // 00000002A690: D1ED00E1 00D28141
	v_cmp_u_f32_e64 s[40:41], v228, v228                       // 00000002A698: D0480028 0003C9E4
	v_add3_u32 v18, v228, v21, 1                               // 00000002A6A0: D1FF0012 02062BE4
	v_cndmask_b32_e64 v64, v18, v20, s[40:41]                  // 00000002A6A8: D1000040 00A22912
	v_cmp_u_f32_e64 s[40:41], v229, v229                       // 00000002A6B0: D0480028 0003CBE5
	v_add3_u32 v18, v229, v21, 1                               // 00000002A6B8: D1FF0012 02062BE5
	v_cndmask_b32_e64 v65, v18, v20, s[40:41]                  // 00000002A6C0: D1000041 00A22912
	v_perm_b32 v226, v65, v64, s52                             // 00000002A6C8: D1ED00E2 00D28141
	v_cmp_u_f32_e64 s[40:41], v230, v230                       // 00000002A6D0: D0480028 0003CDE6
	v_add3_u32 v18, v230, v21, 1                               // 00000002A6D8: D1FF0012 02062BE6
	v_cndmask_b32_e64 v64, v18, v20, s[40:41]                  // 00000002A6E0: D1000040 00A22912
	v_cmp_u_f32_e64 s[40:41], v231, v231                       // 00000002A6E8: D0480028 0003CFE7
	v_add3_u32 v18, v231, v21, 1                               // 00000002A6F0: D1FF0012 02062BE7
	v_cndmask_b32_e64 v65, v18, v20, s[40:41]                  // 00000002A6F8: D1000041 00A22912
	v_perm_b32 v227, v65, v64, s52                             // 00000002A700: D1ED00E3 00D28141
	s_nop 1                                                    // 00000002A708: BF800001
	v_lshrrev_b32_e32 v64, 4, v0                               // 00000002A70C: 20800084
	v_mul_i32_i24_e32 v68, 34, v64                             // 00000002A710: 0C8880A2
	v_and_b32_e32 v64, 15, v0                                  // 00000002A714: 2680008F
	v_mul_i32_i24_e32 v65, 2, v64                              // 00000002A718: 0C828082
	v_add_u32_e32 v68, v65, v68                                // 00000002A71C: 68888941
	s_mul_i32 s60, s7, 0x88                                    // 00000002A720: 923CFF07 00000088
	v_add_u32_e32 v68, s60, v68                                // 00000002A728: 6888883C
	v_lshlrev_b32_e32 v68, 2, v68                              // 00000002A72C: 24888882
	ds_write_b64 v68, v[224:225] offset:41472                  // 00000002A730: D89AA200 0000E044
	ds_write_b64 v68, v[226:227] offset:43648                  // 00000002A738: D89AAA80 0000E244
	v_lshrrev_b32_e32 v64, 1, v0                               // 00000002A740: 20800081
	v_mul_i32_i24_e32 v68, 34, v64                             // 00000002A744: 0C8880A2
	v_and_b32_e32 v65, 1, v0                                   // 00000002A748: 26820081
	v_add_u32_e32 v68, v65, v68                                // 00000002A74C: 68888941
	s_mul_i32 s60, s7, 2                                       // 00000002A750: 923C8207
	v_add_u32_e32 v68, s60, v68                                // 00000002A754: 6888883C
	v_lshlrev_b32_e32 v68, 2, v68                              // 00000002A758: 24888882
	s_waitcnt lgkmcnt(0)                                       // 00000002A75C: BF8CC07F
	s_barrier                                                  // 00000002A760: BF8A0000
	ds_read_b32 v224, v68 offset:41472                         // 00000002A764: D86CA200 E0000044
	ds_read_b32 v225, v68 offset:41504                         // 00000002A76C: D86CA220 E1000044
	ds_read_b32 v226, v68 offset:41536                         // 00000002A774: D86CA240 E2000044
	ds_read_b32 v227, v68 offset:41568                         // 00000002A77C: D86CA260 E3000044
	s_mul_i32 s60, s7, 0x100                                   // 00000002A784: 923CFF07 00000100
	v_lshlrev_b32_e32 v64, 2, v0                               // 00000002A78C: 24800082
	v_add_u32_e64 v64, v64, s60                                // 00000002A790: D1340040 00007940
	s_waitcnt lgkmcnt(0)                                       // 00000002A798: BF8CC07F
	buffer_store_dword v224, v64, s[8:11], 0 offen             // 00000002A79C: E0701000 8002E040
	buffer_store_dword v225, v64, s[8:11], 0 offen offset:1024 // 00000002A7A4: E0701400 8002E140
	buffer_store_dword v226, v64, s[8:11], 0 offen offset:2048 // 00000002A7AC: E0701800 8002E240
	buffer_store_dword v227, v64, s[8:11], 0 offen offset:3072 // 00000002A7B4: E0701C00 8002E340
	s_add_u32 s8, s75, s8                                      // 00000002A7BC: 8008084B
	s_addc_u32 s9, 0, s9                                       // 00000002A7C0: 82090980
	v_mul_f32_e32 v232, v52, v232                              // 00000002A7C4: 0BD1D134
	v_mul_f32_e32 v233, v52, v233                              // 00000002A7C8: 0BD3D334
	v_mul_f32_e32 v234, v52, v234                              // 00000002A7CC: 0BD5D534
	v_mul_f32_e32 v235, v52, v235                              // 00000002A7D0: 0BD7D734
	v_mul_f32_e32 v236, v52, v236                              // 00000002A7D4: 0BD9D934
	v_mul_f32_e32 v237, v52, v237                              // 00000002A7D8: 0BDBDB34
	v_mul_f32_e32 v238, v52, v238                              // 00000002A7DC: 0BDDDD34
	v_mul_f32_e32 v239, v52, v239                              // 00000002A7E0: 0BDFDF34
	v_cvt_f32_i32_e32 v200, v200                               // 00000002A7E4: 7F900BC8
	v_cvt_f32_i32_e32 v201, v201                               // 00000002A7E8: 7F920BC9
	v_cvt_f32_i32_e32 v202, v202                               // 00000002A7EC: 7F940BCA
	v_cvt_f32_i32_e32 v203, v203                               // 00000002A7F0: 7F960BCB
	v_cvt_f32_i32_e32 v204, v204                               // 00000002A7F4: 7F980BCC
	v_cvt_f32_i32_e32 v205, v205                               // 00000002A7F8: 7F9A0BCD
	v_cvt_f32_i32_e32 v206, v206                               // 00000002A7FC: 7F9C0BCE
	v_cvt_f32_i32_e32 v207, v207                               // 00000002A800: 7F9E0BCF
	v_mul_f32_e32 v200, v47, v200                              // 00000002A804: 0B91912F
	v_mul_f32_e32 v201, v47, v201                              // 00000002A808: 0B93932F
	v_mul_f32_e32 v202, v47, v202                              // 00000002A80C: 0B95952F
	v_mul_f32_e32 v203, v47, v203                              // 00000002A810: 0B97972F
	v_mul_f32_e32 v204, v47, v204                              // 00000002A814: 0B99992F
	v_mul_f32_e32 v205, v47, v205                              // 00000002A818: 0B9B9B2F
	v_mul_f32_e32 v206, v47, v206                              // 00000002A81C: 0B9D9D2F
	v_mul_f32_e32 v207, v47, v207                              // 00000002A820: 0B9F9F2F
	v_add_f32_e32 v232, v232, v200                             // 00000002A824: 03D191E8
	v_add_f32_e32 v233, v233, v201                             // 00000002A828: 03D393E9
	v_add_f32_e32 v234, v234, v202                             // 00000002A82C: 03D595EA
	v_add_f32_e32 v235, v235, v203                             // 00000002A830: 03D797EB
	v_add_f32_e32 v236, v236, v204                             // 00000002A834: 03D999EC
	v_add_f32_e32 v237, v237, v205                             // 00000002A838: 03DB9BED
	v_add_f32_e32 v238, v238, v206                             // 00000002A83C: 03DD9DEE
	v_add_f32_e32 v239, v239, v207                             // 00000002A840: 03DF9FEF
	ds_write_b32 v8, v41 offset:16896                          // 00000002A844: D81A4200 00002908
	s_waitcnt lgkmcnt(0)                                       // 00000002A84C: BF8CC07F
	s_barrier                                                  // 00000002A850: BF8A0000
	ds_read_b32 v64, v7 offset:16896                           // 00000002A854: D86C4200 40000007
	ds_read_b32 v65, v7 offset:16960                           // 00000002A85C: D86C4240 41000007
	ds_read_b32 v66, v7 offset:17024                           // 00000002A864: D86C4280 42000007
	ds_read_b32 v67, v7 offset:17088                           // 00000002A86C: D86C42C0 43000007
	ds_read_b32 v68, v7 offset:17152                           // 00000002A874: D86C4300 44000007
	ds_read_b32 v69, v7 offset:17216                           // 00000002A87C: D86C4340 45000007
	ds_read_b32 v70, v7 offset:17280                           // 00000002A884: D86C4380 46000007
	ds_read_b32 v71, v7 offset:17344                           // 00000002A88C: D86C43C0 47000007
	ds_read_b32 v72, v7 offset:17408                           // 00000002A894: D86C4400 48000007
	ds_read_b32 v73, v7 offset:17472                           // 00000002A89C: D86C4440 49000007
	ds_read_b32 v74, v7 offset:17536                           // 00000002A8A4: D86C4480 4A000007
	ds_read_b32 v75, v7 offset:17600                           // 00000002A8AC: D86C44C0 4B000007
	ds_read_b32 v76, v7 offset:17664                           // 00000002A8B4: D86C4500 4C000007
	ds_read_b32 v77, v7 offset:17728                           // 00000002A8BC: D86C4540 4D000007
	ds_read_b32 v78, v7 offset:17792                           // 00000002A8C4: D86C4580 4E000007
	ds_read_b32 v79, v7 offset:17856                           // 00000002A8CC: D86C45C0 4F000007
	s_waitcnt lgkmcnt(0)                                       // 00000002A8D4: BF8CC07F
	v_mov_b32_e32 v41, 0                                       // 00000002A8D8: 7E520280
	v_add_f32_e32 v41, v64, v41                                // 00000002A8DC: 02525340
	v_add_f32_e32 v41, v65, v41                                // 00000002A8E0: 02525341
	v_add_f32_e32 v41, v66, v41                                // 00000002A8E4: 02525342
	v_add_f32_e32 v41, v67, v41                                // 00000002A8E8: 02525343
	v_add_f32_e32 v41, v68, v41                                // 00000002A8EC: 02525344
	v_add_f32_e32 v41, v69, v41                                // 00000002A8F0: 02525345
	v_add_f32_e32 v41, v70, v41                                // 00000002A8F4: 02525346
	v_add_f32_e32 v41, v71, v41                                // 00000002A8F8: 02525347
	v_add_f32_e32 v41, v72, v41                                // 00000002A8FC: 02525348
	v_add_f32_e32 v41, v73, v41                                // 00000002A900: 02525349
	v_add_f32_e32 v41, v74, v41                                // 00000002A904: 0252534A
	v_add_f32_e32 v41, v75, v41                                // 00000002A908: 0252534B
	v_add_f32_e32 v41, v76, v41                                // 00000002A90C: 0252534C
	v_add_f32_e32 v41, v77, v41                                // 00000002A910: 0252534D
	v_add_f32_e32 v41, v78, v41                                // 00000002A914: 0252534E
	v_add_f32_e32 v41, v79, v41                                // 00000002A918: 0252534F
	s_nop 1                                                    // 00000002A91C: BF800001
	v_rcp_f32_e32 v41, v41                                     // 00000002A920: 7E524529
	s_nop 1                                                    // 00000002A924: BF800001
	v_mul_f32_e32 v232, v41, v232                              // 00000002A928: 0BD1D129
	v_mul_f32_e32 v233, v41, v233                              // 00000002A92C: 0BD3D329
	v_mul_f32_e32 v234, v41, v234                              // 00000002A930: 0BD5D529
	v_mul_f32_e32 v235, v41, v235                              // 00000002A934: 0BD7D729
	v_mul_f32_e32 v236, v41, v236                              // 00000002A938: 0BD9D929
	v_mul_f32_e32 v237, v41, v237                              // 00000002A93C: 0BDBDB29
	v_mul_f32_e32 v238, v41, v238                              // 00000002A940: 0BDDDD29
	v_mul_f32_e32 v239, v41, v239                              // 00000002A944: 0BDFDF29
	v_mov_b32_e32 v19, 0xffff0000                              // 00000002A948: 7E2602FF FFFF0000
	v_mov_b32_e32 v20, 0x7fff0000                              // 00000002A950: 7E2802FF 7FFF0000
	v_mov_b32_e32 v21, 0x7fff                                  // 00000002A958: 7E2A02FF 00007FFF
	v_cmp_u_f32_e64 s[40:41], v232, v232                       // 00000002A960: D0480028 0003D1E8
	v_add3_u32 v18, v232, v21, 1                               // 00000002A968: D1FF0012 02062BE8
	v_cndmask_b32_e64 v64, v18, v20, s[40:41]                  // 00000002A970: D1000040 00A22912
	v_cmp_u_f32_e64 s[40:41], v233, v233                       // 00000002A978: D0480028 0003D3E9
	v_add3_u32 v18, v233, v21, 1                               // 00000002A980: D1FF0012 02062BE9
	v_cndmask_b32_e64 v65, v18, v20, s[40:41]                  // 00000002A988: D1000041 00A22912
	v_perm_b32 v232, v65, v64, s52                             // 00000002A990: D1ED00E8 00D28141
	v_cmp_u_f32_e64 s[40:41], v234, v234                       // 00000002A998: D0480028 0003D5EA
	v_add3_u32 v18, v234, v21, 1                               // 00000002A9A0: D1FF0012 02062BEA
	v_cndmask_b32_e64 v64, v18, v20, s[40:41]                  // 00000002A9A8: D1000040 00A22912
	v_cmp_u_f32_e64 s[40:41], v235, v235                       // 00000002A9B0: D0480028 0003D7EB
	v_add3_u32 v18, v235, v21, 1                               // 00000002A9B8: D1FF0012 02062BEB
	v_cndmask_b32_e64 v65, v18, v20, s[40:41]                  // 00000002A9C0: D1000041 00A22912
	v_perm_b32 v233, v65, v64, s52                             // 00000002A9C8: D1ED00E9 00D28141
	v_cmp_u_f32_e64 s[40:41], v236, v236                       // 00000002A9D0: D0480028 0003D9EC
	v_add3_u32 v18, v236, v21, 1                               // 00000002A9D8: D1FF0012 02062BEC
	v_cndmask_b32_e64 v64, v18, v20, s[40:41]                  // 00000002A9E0: D1000040 00A22912
	v_cmp_u_f32_e64 s[40:41], v237, v237                       // 00000002A9E8: D0480028 0003DBED
	v_add3_u32 v18, v237, v21, 1                               // 00000002A9F0: D1FF0012 02062BED
	v_cndmask_b32_e64 v65, v18, v20, s[40:41]                  // 00000002A9F8: D1000041 00A22912
	v_perm_b32 v234, v65, v64, s52                             // 00000002AA00: D1ED00EA 00D28141
	v_cmp_u_f32_e64 s[40:41], v238, v238                       // 00000002AA08: D0480028 0003DDEE
	v_add3_u32 v18, v238, v21, 1                               // 00000002AA10: D1FF0012 02062BEE
	v_cndmask_b32_e64 v64, v18, v20, s[40:41]                  // 00000002AA18: D1000040 00A22912
	v_cmp_u_f32_e64 s[40:41], v239, v239                       // 00000002AA20: D0480028 0003DFEF
	v_add3_u32 v18, v239, v21, 1                               // 00000002AA28: D1FF0012 02062BEF
	v_cndmask_b32_e64 v65, v18, v20, s[40:41]                  // 00000002AA30: D1000041 00A22912
	v_perm_b32 v235, v65, v64, s52                             // 00000002AA38: D1ED00EB 00D28141
	s_nop 1                                                    // 00000002AA40: BF800001
	v_lshrrev_b32_e32 v64, 4, v0                               // 00000002AA44: 20800084
	v_mul_i32_i24_e32 v68, 34, v64                             // 00000002AA48: 0C8880A2
	v_and_b32_e32 v64, 15, v0                                  // 00000002AA4C: 2680008F
	v_mul_i32_i24_e32 v65, 2, v64                              // 00000002AA50: 0C828082
	v_add_u32_e32 v68, v65, v68                                // 00000002AA54: 68888941
	s_mul_i32 s60, s7, 0x88                                    // 00000002AA58: 923CFF07 00000088
	v_add_u32_e32 v68, s60, v68                                // 00000002AA60: 6888883C
	v_lshlrev_b32_e32 v68, 2, v68                              // 00000002AA64: 24888882
	ds_write_b64 v68, v[232:233] offset:41472                  // 00000002AA68: D89AA200 0000E844
	ds_write_b64 v68, v[234:235] offset:43648                  // 00000002AA70: D89AAA80 0000EA44
	v_lshrrev_b32_e32 v64, 1, v0                               // 00000002AA78: 20800081
	v_mul_i32_i24_e32 v68, 34, v64                             // 00000002AA7C: 0C8880A2
	v_and_b32_e32 v65, 1, v0                                   // 00000002AA80: 26820081
	v_add_u32_e32 v68, v65, v68                                // 00000002AA84: 68888941
	s_mul_i32 s60, s7, 2                                       // 00000002AA88: 923C8207
	v_add_u32_e32 v68, s60, v68                                // 00000002AA8C: 6888883C
	v_lshlrev_b32_e32 v68, 2, v68                              // 00000002AA90: 24888882
	s_waitcnt lgkmcnt(0)                                       // 00000002AA94: BF8CC07F
	s_barrier                                                  // 00000002AA98: BF8A0000
	ds_read_b32 v232, v68 offset:41472                         // 00000002AA9C: D86CA200 E8000044
	ds_read_b32 v233, v68 offset:41504                         // 00000002AAA4: D86CA220 E9000044
	ds_read_b32 v234, v68 offset:41536                         // 00000002AAAC: D86CA240 EA000044
	ds_read_b32 v235, v68 offset:41568                         // 00000002AAB4: D86CA260 EB000044
	s_mul_i32 s60, s7, 0x100                                   // 00000002AABC: 923CFF07 00000100
	v_lshlrev_b32_e32 v64, 2, v0                               // 00000002AAC4: 24800082
	v_add_u32_e64 v64, v64, s60                                // 00000002AAC8: D1340040 00007940
	s_waitcnt lgkmcnt(0)                                       // 00000002AAD0: BF8CC07F
	buffer_store_dword v232, v64, s[8:11], 0 offen             // 00000002AAD4: E0701000 8002E840
	buffer_store_dword v233, v64, s[8:11], 0 offen offset:1024 // 00000002AADC: E0701400 8002E940
	buffer_store_dword v234, v64, s[8:11], 0 offen offset:2048 // 00000002AAE4: E0701800 8002EA40
	buffer_store_dword v235, v64, s[8:11], 0 offen offset:3072 // 00000002AAEC: E0701C00 8002EB40
	s_add_u32 s8, s75, s8                                      // 00000002AAF4: 8008084B
	s_addc_u32 s9, 0, s9                                       // 00000002AAF8: 82090980
	s_branch label_A240                                        // 00000002AAFC: BF820000

000000000002ab00 <label_A240>:
	s_waitcnt vmcnt(0) expcnt(0) lgkmcnt(0)                    // 00000002AB00: BF8C0000
	s_endpgm                                                   // 00000002AB04: BF810000
